;; amdgpu-corpus repo=ROCm/vllm kind=compiled arch=gfx90a opt=O3
	.text
	.amdgcn_target "amdgcn-amd-amdhsa--gfx90a"
	.amdhsa_code_object_version 6
	.protected	_Z37convert_vertical_slash_indexes_kernelPKiS0_S0_S0_PiS1_S1_S1_llllllb ; -- Begin function _Z37convert_vertical_slash_indexes_kernelPKiS0_S0_S0_PiS1_S1_S1_llllllb
	.globl	_Z37convert_vertical_slash_indexes_kernelPKiS0_S0_S0_PiS1_S1_S1_llllllb
	.p2align	8
	.type	_Z37convert_vertical_slash_indexes_kernelPKiS0_S0_S0_PiS1_S1_S1_llllllb,@function
_Z37convert_vertical_slash_indexes_kernelPKiS0_S0_S0_PiS1_S1_S1_llllllb: ; @_Z37convert_vertical_slash_indexes_kernelPKiS0_S0_S0_PiS1_S1_S1_llllllb
; %bb.0:
	s_load_dwordx16 s[44:59], s[4:5], 0x0
	s_mov_b32 s2, s7
	s_ashr_i32 s3, s7, 31
	s_lshl_b64 s[14:15], s[2:3], 2
	s_waitcnt lgkmcnt(0)
	s_add_u32 s0, s44, s14
	s_addc_u32 s1, s45, s15
	s_load_dword s12, s[0:1], 0x0
	s_load_dword s7, s[4:5], 0x84
	s_load_dwordx8 s[36:43], s[4:5], 0x40
	s_waitcnt lgkmcnt(0)
	s_ashr_i32 s13, s12, 31
	s_and_b32 s0, s7, 0xffff
	s_mul_i32 s8, s8, s0
	v_add_u32_e32 v2, s8, v0
	v_mad_u64_u32 v[0:1], s[0:1], v2, s40, 0
	v_mov_b32_e32 v4, v1
	v_mad_u64_u32 v[4:5], s[0:1], v2, s41, v[4:5]
	v_mov_b32_e32 v1, v4
	v_cmp_gt_i64_e32 vcc, s[12:13], v[0:1]
	s_and_saveexec_b64 s[0:1], vcc
	s_cbranch_execz .LBB0_84
; %bb.1:
	s_load_dword s7, s[4:5], 0x70
	s_load_dwordx4 s[8:11], s[4:5], 0x60
	s_mul_i32 s3, s3, s36
                                        ; implicit-def: $vgpr71 : SGPR spill to VGPR lane
	v_mov_b32_e32 v3, s41
	v_add_co_u32_e32 v12, vcc, s40, v0
	s_waitcnt lgkmcnt(0)
	s_bitcmp1_b32 s7, 0
	s_cselect_b64 s[28:29], -1, 0
	s_add_u32 s4, s46, s14
	s_addc_u32 s5, s47, s15
	s_load_dword s4, s[4:5], 0x0
	s_mul_i32 s5, s2, s37
	s_mul_hi_u32 s7, s2, s36
	s_add_i32 s7, s7, s5
	s_add_i32 s7, s7, s3
	s_waitcnt lgkmcnt(0)
	s_ashr_i32 s5, s4, 31
	s_mul_i32 s2, s2, s36
	s_ashr_i32 s3, s6, 31
	s_add_u32 s26, s2, s6
	s_addc_u32 s27, s7, s3
	s_mul_i32 s2, s26, s9
	s_mul_hi_u32 s3, s26, s8
	s_add_i32 s2, s3, s2
	s_mul_i32 s3, s27, s8
	s_add_i32 s3, s2, s3
	s_mul_i32 s2, s26, s8
	s_lshl_b64 s[2:3], s[2:3], 2
	s_add_u32 s6, s48, s2
	s_addc_u32 s7, s49, s3
	s_mul_i32 s2, s26, s11
	s_mul_hi_u32 s3, s26, s10
	s_add_i32 s2, s3, s2
	s_mul_i32 s3, s27, s10
	s_add_i32 s3, s2, s3
	s_mul_i32 s2, s26, s10
	s_lshl_b64 s[2:3], s[2:3], 2
	s_add_u32 s14, s50, s2
	s_addc_u32 s15, s51, s3
	s_load_dword s16, s[14:15], 0x0
	v_writelane_b32 v71, s6, 0
	s_load_dword s30, s[6:7], 0x0
	v_addc_co_u32_e32 v13, vcc, v1, v3, vcc
	s_mov_b64 s[0:1], -1
	v_writelane_b32 v71, s7, 1
	s_waitcnt lgkmcnt(0)
	s_ashr_i32 s17, s16, 31
	s_and_b64 vcc, exec, s[28:29]
	v_cmp_gt_i64_e64 s[6:7], s[10:11], 1
	s_cbranch_vccnz .LBB0_7
; %bb.2:
	v_mov_b32_e32 v3, s5
	v_add_co_u32_e32 v4, vcc, s4, v12
	v_addc_co_u32_e32 v5, vcc, v13, v3, vcc
	v_cmp_ge_i64_e32 vcc, s[16:17], v[4:5]
	v_mov_b32_e32 v32, 1
	s_mov_b64 s[20:21], 1
	v_mov_b32_e32 v33, 0
	s_and_b64 s[0:1], vcc, s[6:7]
	v_pk_mov_b32 v[8:9], s[16:17], s[16:17] op_sel:[0,1]
	s_and_saveexec_b64 s[18:19], s[0:1]
	s_cbranch_execz .LBB0_6
; %bb.3:
	s_add_u32 s0, s2, s50
	s_addc_u32 s1, s3, s51
	s_add_u32 s22, s0, 4
	s_addc_u32 s23, s1, 0
	s_mov_b64 s[24:25], 0
	v_pk_mov_b32 v[6:7], s[10:11], s[10:11] op_sel:[0,1]
.LBB0_4:                                ; =>This Inner Loop Header: Depth=1
	s_load_dword s6, s[22:23], 0x0
	s_add_u32 s20, s20, 1
	s_addc_u32 s21, s21, 0
	v_cmp_ge_i64_e32 vcc, s[20:21], v[6:7]
	v_pk_mov_b32 v[32:33], s[20:21], s[20:21] op_sel:[0,1]
	s_waitcnt lgkmcnt(0)
	s_ashr_i32 s7, s6, 31
	v_cmp_lt_i64_e64 s[0:1], s[6:7], v[4:5]
	s_or_b64 s[0:1], s[0:1], vcc
	s_add_u32 s22, s22, 4
	s_addc_u32 s23, s23, 0
	s_and_b64 s[0:1], exec, s[0:1]
	s_or_b64 s[24:25], s[0:1], s[24:25]
	v_pk_mov_b32 v[8:9], s[6:7], s[6:7] op_sel:[0,1]
	s_andn2_b64 exec, exec, s[24:25]
	s_cbranch_execnz .LBB0_4
; %bb.5:
	s_or_b64 exec, exec, s[24:25]
.LBB0_6:
	s_or_b64 exec, exec, s[18:19]
	v_cmp_ge_i64_e64 s[18:19], v[4:5], v[8:9]
	v_sub_co_u32_e32 v4, vcc, v4, v8
	v_subb_co_u32_e32 v5, vcc, v5, v9, vcc
	v_mov_b32_e32 v3, 0
	s_branch .LBB0_13
.LBB0_7:
                                        ; implicit-def: $sgpr18_sgpr19
                                        ; implicit-def: $vgpr32_vgpr33
                                        ; implicit-def: $vgpr4_vgpr5
	v_mov_b32_e32 v3, 0
	s_and_b64 vcc, exec, s[0:1]
	s_cbranch_vccz .LBB0_13
; %bb.8:
	s_sub_u32 s0, s4, s12
	s_subb_u32 s1, s5, s13
	v_mov_b32_e32 v5, s1
	v_add_co_u32_e32 v4, vcc, s0, v12
	v_addc_co_u32_e32 v5, vcc, v13, v5, vcc
	v_cmp_ge_i64_e32 vcc, s[16:17], v[4:5]
	v_mov_b32_e32 v32, 1
	v_cmp_gt_i64_e64 s[0:1], s[10:11], 1
	s_mov_b64 s[18:19], 1
	v_mov_b32_e32 v33, 0
	s_and_b64 s[0:1], vcc, s[0:1]
	v_pk_mov_b32 v[8:9], s[16:17], s[16:17] op_sel:[0,1]
	s_and_saveexec_b64 s[16:17], s[0:1]
	s_cbranch_execz .LBB0_12
; %bb.9:
	s_add_u32 s0, s2, s50
	s_addc_u32 s1, s3, s51
	s_add_u32 s2, s0, 4
	s_addc_u32 s3, s1, 0
	s_mov_b64 s[20:21], 0
	v_pk_mov_b32 v[6:7], s[10:11], s[10:11] op_sel:[0,1]
.LBB0_10:                               ; =>This Inner Loop Header: Depth=1
	s_load_dword s6, s[2:3], 0x0
	s_add_u32 s18, s18, 1
	s_addc_u32 s19, s19, 0
	v_cmp_ge_i64_e32 vcc, s[18:19], v[6:7]
	v_pk_mov_b32 v[32:33], s[18:19], s[18:19] op_sel:[0,1]
	s_waitcnt lgkmcnt(0)
	s_ashr_i32 s7, s6, 31
	v_cmp_lt_i64_e64 s[0:1], s[6:7], v[4:5]
	s_or_b64 s[0:1], s[0:1], vcc
	s_add_u32 s2, s2, 4
	s_addc_u32 s3, s3, 0
	s_and_b64 s[0:1], exec, s[0:1]
	s_or_b64 s[20:21], s[0:1], s[20:21]
	v_pk_mov_b32 v[8:9], s[6:7], s[6:7] op_sel:[0,1]
	s_andn2_b64 exec, exec, s[20:21]
	s_cbranch_execnz .LBB0_10
; %bb.11:
	s_or_b64 exec, exec, s[20:21]
.LBB0_12:
	s_or_b64 exec, exec, s[16:17]
	v_cmp_ge_i64_e64 s[18:19], v[4:5], v[8:9]
	v_sub_co_u32_e32 v4, vcc, v4, v8
	v_subb_co_u32_e32 v5, vcc, v5, v9, vcc
.LBB0_13:
	v_mov_b32_e32 v6, s41
	v_cmp_lt_i64_e32 vcc, s[40:41], v[4:5]
	v_cndmask_b32_e32 v41, v6, v5, vcc
	v_mov_b32_e32 v5, s40
	v_cndmask_b32_e32 v40, v5, v4, vcc
	v_mov_b32_e32 v4, s41
	v_subrev_co_u32_e32 v42, vcc, s40, v40
	s_xor_b64 s[16:17], s[28:29], -1
	s_mov_b64 s[2:3], -1
	s_xor_b64 s[6:7], s[18:19], -1
	v_subb_co_u32_e32 v43, vcc, v41, v4, vcc
	v_pk_mov_b32 v[44:45], v[40:41], v[40:41] op_sel:[0,1]
	s_and_saveexec_b64 s[0:1], s[6:7]
	s_cbranch_execz .LBB0_18
; %bb.14:
	s_and_b64 vcc, exec, s[16:17]
                                        ; implicit-def: $sgpr6_sgpr7
	s_cbranch_vccz .LBB0_16
; %bb.15:
	s_add_u32 s6, s4, s42
	s_addc_u32 s7, s5, s43
	s_mov_b64 s[2:3], 0
.LBB0_16:
	s_andn2_b64 vcc, exec, s[2:3]
	v_pk_mov_b32 v[44:45], s[6:7], s[6:7] op_sel:[0,1]
	v_pk_mov_b32 v[42:43], s[4:5], s[4:5] op_sel:[0,1]
	s_cbranch_vccnz .LBB0_18
; %bb.17:
	s_sub_u32 s2, s4, s12
	s_subb_u32 s3, s5, s13
	v_mov_b32_e32 v4, s3
	v_add_co_u32_e32 v42, vcc, s2, v12
	v_addc_co_u32_e32 v43, vcc, v13, v4, vcc
	v_mov_b32_e32 v4, s43
	v_add_co_u32_e32 v44, vcc, s42, v42
	v_addc_co_u32_e32 v45, vcc, v43, v4, vcc
.LBB0_18:
	s_or_b64 exec, exec, s[0:1]
	s_mul_i32 s27, s27, s38
	s_mul_i32 s0, s26, s39
	v_mov_b32_e32 v4, s38
	s_add_i32 s2, s0, s27
	v_mad_u64_u32 v[2:3], s[0:1], s26, v4, v[2:3]
	v_add_u32_e32 v3, s2, v3
	v_mul_lo_u32 v6, v3, s8
	v_mul_lo_u32 v7, v2, s9
	v_mad_u64_u32 v[4:5], s[0:1], v2, s8, 0
	v_add3_u32 v5, v5, v7, v6
	v_lshlrev_b64 v[4:5], 2, v[4:5]
	v_mov_b32_e32 v6, s59
	v_add_co_u32_e32 v64, vcc, s58, v4
	s_sub_u32 s0, s4, s12
	v_addc_co_u32_e32 v65, vcc, v6, v5, vcc
	s_subb_u32 s1, s5, s13
	v_mov_b32_e32 v4, s5
	v_add_co_u32_e32 v66, vcc, s4, v12
	s_add_u32 s18, s4, s42
	v_addc_co_u32_e32 v67, vcc, v13, v4, vcc
	s_addc_u32 s19, s5, s43
	v_mov_b32_e32 v4, s1
	v_add_co_u32_e32 v8, vcc, s0, v12
	s_and_b64 s[0:1], exec, s[28:29]
	s_cselect_b32 s1, s12, 0
	s_mov_b64 s[20:21], s[52:53]
	s_cselect_b32 s0, s13, 0
	s_sub_u32 s1, s18, s1
	s_mov_b64 s[22:23], s[54:55]
	s_mov_b64 s[24:25], s[56:57]
	s_subb_u32 s0, s19, s0
	v_writelane_b32 v71, s12, 2
	v_writelane_b32 v71, s13, 3
	;; [unrolled: 1-line block ×6, first 2 shown]
	v_addc_co_u32_e32 v9, vcc, v4, v13, vcc
	v_writelane_b32 v71, s18, 8
	v_mov_b32_e32 v4, s43
	v_add_co_u32_e32 v10, vcc, s42, v8
	v_writelane_b32 v71, s19, 9
	v_addc_co_u32_e32 v11, vcc, v9, v4, vcc
	v_writelane_b32 v71, s20, 10
	v_mov_b32_e32 v4, s0
	v_add_co_u32_e32 v12, vcc, s1, v12
	v_writelane_b32 v71, s21, 11
	v_addc_co_u32_e32 v13, vcc, v4, v13, vcc
	v_mul_lo_u32 v6, s10, v3
	v_mul_lo_u32 v7, s11, v2
	v_mad_u64_u32 v[4:5], s[0:1], s10, v2, 0
	v_writelane_b32 v71, s22, 12
	v_add3_u32 v5, v5, v6, v7
	v_writelane_b32 v71, s23, 13
	v_lshlrev_b64 v[6:7], 2, v[4:5]
	v_writelane_b32 v71, s24, 14
	v_mov_b32_e32 v4, s55
	v_writelane_b32 v71, s25, 15
	v_add_co_u32_e32 v68, vcc, s54, v6
	v_writelane_b32 v71, s26, 16
	v_addc_co_u32_e32 v69, vcc, v4, v7, vcc
	v_pk_mov_b32 v[4:5], 0, 0
	v_writelane_b32 v71, s27, 17
	s_mov_b64 s[76:77], 0
	s_mov_b64 s[34:35], 1
	s_mov_b64 s[26:27], 0
	v_mov_b32_e32 v16, s30
	v_pk_mov_b32 v[14:15], s[8:9], s[8:9] op_sel:[0,1]
	v_mov_b32_e32 v70, 0
	v_pk_mov_b32 v[52:53], v[4:5], v[4:5] op_sel:[0,1]
                                        ; implicit-def: $sgpr30_sgpr31
	s_branch .LBB0_20
.LBB0_19:                               ;   in Loop: Header=BB0_20 Depth=1
	s_or_b64 exec, exec, s[2:3]
	s_and_b64 s[0:1], exec, s[0:1]
	s_or_b64 s[26:27], s[0:1], s[26:27]
	s_andn2_b64 s[0:1], s[30:31], exec
	s_and_b64 s[2:3], s[36:37], exec
	s_or_b64 s[30:31], s[0:1], s[2:3]
	s_andn2_b64 exec, exec, s[26:27]
	s_cbranch_execz .LBB0_73
.LBB0_20:                               ; =>This Loop Header: Depth=1
                                        ;     Child Loop BB0_23 Depth 2
                                        ;       Child Loop BB0_31 Depth 3
                                        ;         Child Loop BB0_51 Depth 4
                                        ;         Child Loop BB0_67 Depth 4
	s_cmp_lg_u64 s[34:35], s[8:9]
	s_waitcnt vmcnt(0)
	v_ashrrev_i32_e32 v17, 31, v16
	s_cselect_b64 s[46:47], -1, 0
	v_cmp_lt_i64_e64 s[0:1], s[34:35], v[14:15]
	s_mov_b64 s[48:49], 0
	v_pk_mov_b32 v[62:63], v[52:53], v[52:53] op_sel:[0,1]
	v_pk_mov_b32 v[58:59], v[32:33], v[32:33] op_sel:[0,1]
	;; [unrolled: 1-line block ×5, first 2 shown]
                                        ; implicit-def: $sgpr44_sgpr45
                                        ; implicit-def: $sgpr38_sgpr39
                                        ; implicit-def: $sgpr36_sgpr37
                                        ; implicit-def: $sgpr52_sgpr53
                                        ; implicit-def: $sgpr50_sgpr51
	s_branch .LBB0_23
.LBB0_21:                               ;   in Loop: Header=BB0_23 Depth=2
	s_or_b64 exec, exec, s[2:3]
	s_and_b64 s[76:77], s[56:57], exec
	s_andn2_b64 s[2:3], s[52:53], exec
	s_andn2_b64 s[54:55], s[54:55], exec
	;; [unrolled: 1-line block ×3, first 2 shown]
	s_or_b64 s[52:53], s[2:3], s[76:77]
	s_orn2_b64 s[2:3], s[0:1], exec
                                        ; implicit-def: $vgpr50_vgpr51
                                        ; implicit-def: $vgpr48_vgpr49
                                        ; implicit-def: $vgpr46_vgpr47
                                        ; implicit-def: $vgpr18_vgpr19
	v_pk_mov_b32 v[52:53], v[62:63], v[62:63] op_sel:[0,1]
	v_pk_mov_b32 v[32:33], v[58:59], v[58:59] op_sel:[0,1]
	;; [unrolled: 1-line block ×5, first 2 shown]
.LBB0_22:                               ;   in Loop: Header=BB0_23 Depth=2
	s_or_b64 exec, exec, s[20:21]
	s_xor_b64 s[6:7], s[54:55], -1
	s_and_b64 s[2:3], exec, s[2:3]
	s_or_b64 s[48:49], s[2:3], s[48:49]
	s_andn2_b64 s[2:3], s[36:37], exec
	s_and_b64 s[20:21], s[50:51], exec
	s_or_b64 s[36:37], s[2:3], s[20:21]
	s_andn2_b64 s[2:3], s[38:39], exec
	s_and_b64 s[20:21], s[52:53], exec
	s_or_b64 s[38:39], s[2:3], s[20:21]
	s_andn2_b64 s[2:3], s[44:45], exec
	s_and_b64 s[6:7], s[6:7], exec
	s_or_b64 s[44:45], s[2:3], s[6:7]
	v_pk_mov_b32 v[16:17], v[12:13], v[12:13] op_sel:[0,1]
	s_andn2_b64 exec, exec, s[48:49]
	s_cbranch_execz .LBB0_71
.LBB0_23:                               ;   Parent Loop BB0_20 Depth=1
                                        ; =>  This Loop Header: Depth=2
                                        ;       Child Loop BB0_31 Depth 3
                                        ;         Child Loop BB0_51 Depth 4
                                        ;         Child Loop BB0_67 Depth 4
	s_mov_b64 s[60:61], 0
	v_pk_mov_b32 v[18:19], v[62:63], v[62:63] op_sel:[0,1]
	v_pk_mov_b32 v[20:21], v[58:59], v[58:59] op_sel:[0,1]
	;; [unrolled: 1-line block ×5, first 2 shown]
                                        ; implicit-def: $sgpr56_sgpr57
                                        ; implicit-def: $sgpr54_sgpr55
                                        ; implicit-def: $sgpr64_sgpr65
                                        ; implicit-def: $sgpr62_sgpr63
                                        ; implicit-def: $sgpr58_sgpr59
                                        ; implicit-def: $sgpr66_sgpr67
                                        ; implicit-def: $sgpr72_sgpr73
                                        ; implicit-def: $sgpr68_sgpr69
                                        ; implicit-def: $sgpr70_sgpr71
                                        ; implicit-def: $sgpr74_sgpr75
	s_branch .LBB0_31
.LBB0_24:                               ;   in Loop: Header=BB0_31 Depth=3
	s_or_b64 exec, exec, s[6:7]
.LBB0_25:                               ;   in Loop: Header=BB0_31 Depth=3
	s_or_b64 exec, exec, s[94:95]
.LBB0_26:                               ;   in Loop: Header=BB0_31 Depth=3
	s_or_b64 exec, exec, s[86:87]
	v_mov_b32_e32 v32, s41
	v_subrev_co_u32_e32 v36, vcc, s40, v34
	s_andn2_b64 s[2:3], s[22:23], exec
	s_and_b64 s[6:7], s[82:83], exec
	v_subb_co_u32_e32 v37, vcc, v35, v32, vcc
	s_or_b64 s[22:23], s[2:3], s[6:7]
	v_pk_mov_b32 v[38:39], v[34:35], v[34:35] op_sel:[0,1]
.LBB0_27:                               ;   in Loop: Header=BB0_31 Depth=3
	s_or_b64 exec, exec, s[24:25]
	s_andn2_b64 s[2:3], s[82:83], exec
	s_and_b64 s[6:7], s[22:23], exec
	s_or_b64 s[82:83], s[2:3], s[6:7]
.LBB0_28:                               ;   in Loop: Header=BB0_31 Depth=3
	s_or_b64 exec, exec, s[20:21]
	s_and_b64 s[20:21], s[82:83], exec
	s_andn2_b64 s[88:89], s[88:89], exec
	s_xor_b64 s[2:3], exec, -1
.LBB0_29:                               ;   in Loop: Header=BB0_31 Depth=3
	s_or_b64 exec, exec, s[76:77]
	s_andn2_b64 s[6:7], s[74:75], exec
	s_and_b64 s[20:21], s[20:21], exec
	s_or_b64 s[74:75], s[6:7], s[20:21]
	s_andn2_b64 s[6:7], s[70:71], exec
	s_and_b64 s[20:21], s[92:93], exec
	s_or_b64 s[70:71], s[6:7], s[20:21]
	;; [unrolled: 3-line block ×5, first 2 shown]
	v_pk_mov_b32 v[44:45], v[26:27], v[26:27] op_sel:[0,1]
	v_pk_mov_b32 v[42:43], v[24:25], v[24:25] op_sel:[0,1]
	;; [unrolled: 1-line block ×8, first 2 shown]
                                        ; implicit-def: $sgpr76_sgpr77
.LBB0_30:                               ;   in Loop: Header=BB0_31 Depth=3
	s_or_b64 exec, exec, s[78:79]
	s_and_b64 s[2:3], exec, s[66:67]
	s_or_b64 s[60:61], s[2:3], s[60:61]
	s_andn2_b64 s[2:3], s[76:77], exec
	s_and_b64 s[6:7], s[74:75], exec
	s_or_b64 s[76:77], s[2:3], s[6:7]
	s_andn2_b64 s[2:3], s[58:59], exec
	s_and_b64 s[6:7], s[70:71], exec
	;; [unrolled: 3-line block ×6, first 2 shown]
	v_pk_mov_b32 v[54:55], v[26:27], v[26:27] op_sel:[0,1]
	v_pk_mov_b32 v[56:57], v[24:25], v[24:25] op_sel:[0,1]
	;; [unrolled: 1-line block ×5, first 2 shown]
	s_or_b64 s[56:57], s[2:3], s[6:7]
	v_pk_mov_b32 v[18:19], v[28:29], v[28:29] op_sel:[0,1]
	v_pk_mov_b32 v[20:21], v[30:31], v[30:31] op_sel:[0,1]
	;; [unrolled: 1-line block ×5, first 2 shown]
	s_andn2_b64 exec, exec, s[60:61]
	s_cbranch_execz .LBB0_68
.LBB0_31:                               ;   Parent Loop BB0_20 Depth=1
                                        ;     Parent Loop BB0_23 Depth=2
                                        ; =>    This Loop Header: Depth=3
                                        ;         Child Loop BB0_51 Depth 4
                                        ;         Child Loop BB0_67 Depth 4
	s_andn2_b64 s[2:3], s[72:73], exec
	s_and_b64 s[6:7], s[76:77], exec
	v_cmp_ge_i64_e32 vcc, v[16:17], v[26:27]
	s_andn2_b64 s[74:75], s[74:75], exec
	s_or_b64 s[70:71], s[70:71], exec
	s_andn2_b64 s[68:69], s[68:69], exec
	s_or_b64 s[72:73], s[2:3], s[6:7]
	s_or_b64 s[66:67], s[66:67], exec
                                        ; implicit-def: $vgpr38_vgpr39
                                        ; implicit-def: $vgpr36_vgpr37
                                        ; implicit-def: $vgpr34_vgpr35
                                        ; implicit-def: $vgpr30_vgpr31
                                        ; implicit-def: $vgpr28_vgpr29
                                        ; implicit-def: $vgpr44_vgpr45
                                        ; implicit-def: $vgpr42_vgpr43
                                        ; implicit-def: $vgpr40_vgpr41
                                        ; implicit-def: $vgpr32_vgpr33
                                        ; implicit-def: $vgpr52_vgpr53
                                        ; implicit-def: $sgpr84_sgpr85
                                        ; implicit-def: $vgpr46_vgpr47
                                        ; implicit-def: $vgpr48_vgpr49
                                        ; implicit-def: $vgpr50_vgpr51
                                        ; implicit-def: $sgpr80_sgpr81
	s_and_saveexec_b64 s[78:79], vcc
	s_cbranch_execz .LBB0_30
; %bb.32:                               ;   in Loop: Header=BB0_31 Depth=3
	v_cmp_le_i64_e32 vcc, s[10:11], v[20:21]
	s_or_b64 s[2:3], vcc, s[16:17]
	s_xor_b64 s[2:3], s[2:3], -1
	s_mov_b64 s[20:21], 0
	s_mov_b64 s[22:23], 0
                                        ; implicit-def: $vgpr32_vgpr33
	s_and_saveexec_b64 s[6:7], s[2:3]
	s_xor_b64 s[6:7], exec, s[6:7]
	s_cbranch_execz .LBB0_34
; %bb.33:                               ;   in Loop: Header=BB0_31 Depth=3
	v_lshlrev_b64 v[28:29], 2, v[20:21]
	v_mov_b32_e32 v30, s15
	v_add_co_u32_e64 v28, s[2:3], s14, v28
	v_addc_co_u32_e64 v29, s[2:3], v30, v29, s[2:3]
	global_load_dword v32, v[28:29], off
	s_mov_b64 s[22:23], exec
	s_waitcnt vmcnt(0)
	v_ashrrev_i32_e32 v33, 31, v32
	s_andn2_saveexec_b64 s[24:25], s[6:7]
	s_cbranch_execz .LBB0_38
	s_branch .LBB0_35
.LBB0_34:                               ;   in Loop: Header=BB0_31 Depth=3
	s_andn2_saveexec_b64 s[24:25], s[6:7]
	s_cbranch_execz .LBB0_38
.LBB0_35:                               ;   in Loop: Header=BB0_31 Depth=3
	s_or_b64 s[2:3], vcc, s[28:29]
	s_mov_b64 s[20:21], -1
	s_xor_b64 s[80:81], s[2:3], -1
	s_mov_b64 s[2:3], s[22:23]
                                        ; implicit-def: $vgpr32_vgpr33
	s_and_saveexec_b64 s[6:7], s[80:81]
	s_cbranch_execz .LBB0_37
; %bb.36:                               ;   in Loop: Header=BB0_31 Depth=3
	v_lshlrev_b64 v[28:29], 2, v[20:21]
	v_mov_b32_e32 v30, s15
	v_add_co_u32_e32 v28, vcc, s14, v28
	v_addc_co_u32_e32 v29, vcc, v30, v29, vcc
	global_load_dword v32, v[28:29], off
	s_andn2_b64 s[80:81], s[22:23], exec
	s_waitcnt vmcnt(0)
	v_ashrrev_i32_e32 v33, 31, v32
	v_cmp_le_i64_e64 s[2:3], v[0:1], v[32:33]
	v_cmp_gt_i64_e32 vcc, v[0:1], v[32:33]
	s_and_b64 s[2:3], s[2:3], exec
	s_orn2_b64 s[20:21], vcc, exec
	s_or_b64 s[2:3], s[80:81], s[2:3]
.LBB0_37:                               ;   in Loop: Header=BB0_31 Depth=3
	s_or_b64 exec, exec, s[6:7]
	s_andn2_b64 s[6:7], s[22:23], exec
	s_and_b64 s[2:3], s[2:3], exec
	s_and_b64 s[20:21], s[20:21], exec
	s_or_b64 s[22:23], s[6:7], s[2:3]
.LBB0_38:                               ;   in Loop: Header=BB0_31 Depth=3
	s_or_b64 exec, exec, s[24:25]
	s_mov_b64 s[86:87], 0
                                        ; implicit-def: $sgpr82_sgpr83
                                        ; implicit-def: $vgpr38_vgpr39
                                        ; implicit-def: $vgpr36_vgpr37
                                        ; implicit-def: $vgpr34_vgpr35
                                        ; implicit-def: $vgpr30_vgpr31
                                        ; implicit-def: $vgpr28_vgpr29
	s_and_saveexec_b64 s[2:3], s[22:23]
	s_cbranch_execz .LBB0_44
; %bb.39:                               ;   in Loop: Header=BB0_31 Depth=3
	v_add_co_u32_e32 v30, vcc, 1, v20
	v_addc_co_u32_e32 v31, vcc, 0, v21, vcc
	s_and_b64 vcc, exec, s[16:17]
	s_cbranch_vccz .LBB0_41
; %bb.40:                               ;   in Loop: Header=BB0_31 Depth=3
	v_sub_co_u32_e32 v28, vcc, v66, v32
	v_subb_co_u32_e32 v29, vcc, v67, v33, vcc
	v_mov_b32_e32 v34, s41
	v_cmp_lt_i64_e32 vcc, s[40:41], v[28:29]
	v_cndmask_b32_e32 v35, v34, v29, vcc
	v_mov_b32_e32 v29, s40
	v_cndmask_b32_e32 v34, v29, v28, vcc
	s_and_b64 s[22:23], s[76:77], exec
	s_cbranch_execz .LBB0_42
	s_branch .LBB0_43
.LBB0_41:                               ;   in Loop: Header=BB0_31 Depth=3
                                        ; implicit-def: $sgpr22_sgpr23
                                        ; implicit-def: $vgpr34_vgpr35
.LBB0_42:                               ;   in Loop: Header=BB0_31 Depth=3
	v_mov_b32_e32 v28, s13
	v_add_co_u32_e32 v29, vcc, s12, v32
	v_addc_co_u32_e32 v32, vcc, v28, v33, vcc
	v_sub_co_u32_e32 v28, vcc, v66, v29
	v_subb_co_u32_e32 v29, vcc, v67, v32, vcc
	v_mov_b32_e32 v32, s41
	v_cmp_lt_i64_e32 vcc, s[40:41], v[28:29]
	v_cndmask_b32_e32 v35, v32, v29, vcc
	v_mov_b32_e32 v29, s40
	s_andn2_b64 s[6:7], s[22:23], exec
	s_and_b64 s[22:23], s[76:77], exec
	v_cndmask_b32_e32 v34, v29, v28, vcc
	s_or_b64 s[22:23], s[6:7], s[22:23]
.LBB0_43:                               ;   in Loop: Header=BB0_31 Depth=3
	s_mov_b64 s[86:87], exec
	s_and_b64 s[82:83], s[22:23], exec
	v_pk_mov_b32 v[38:39], v[26:27], v[26:27] op_sel:[0,1]
	v_pk_mov_b32 v[36:37], v[24:25], v[24:25] op_sel:[0,1]
	;; [unrolled: 1-line block ×3, first 2 shown]
.LBB0_44:                               ;   in Loop: Header=BB0_31 Depth=3
	s_or_b64 exec, exec, s[2:3]
	s_mov_b64 s[2:3], -1
	s_mov_b64 s[92:93], -1
                                        ; implicit-def: $sgpr88_sgpr89
                                        ; implicit-def: $sgpr90_sgpr91
                                        ; implicit-def: $sgpr84_sgpr85
                                        ; implicit-def: $sgpr80_sgpr81
	s_and_saveexec_b64 s[94:95], s[20:21]
	s_cbranch_execz .LBB0_59
; %bb.45:                               ;   in Loop: Header=BB0_31 Depth=3
	s_mov_b64 s[80:81], -1
	s_and_b64 vcc, exec, s[46:47]
	s_cbranch_vccz .LBB0_57
; %bb.46:                               ;   in Loop: Header=BB0_31 Depth=3
	v_cmp_le_i64_e32 vcc, v[16:17], v[24:25]
	s_or_b64 s[6:7], vcc, s[16:17]
	s_mov_b64 s[24:25], s[86:87]
	s_mov_b64 s[22:23], s[76:77]
                                        ; implicit-def: $vcc
                                        ; implicit-def: $vgpr38_vgpr39
                                        ; implicit-def: $vgpr36_vgpr37
                                        ; implicit-def: $vgpr28_vgpr29
	s_and_saveexec_b64 s[20:21], s[6:7]
	s_cbranch_execz .LBB0_56
; %bb.47:                               ;   in Loop: Header=BB0_31 Depth=3
	s_andn2_b64 vcc, exec, s[16:17]
	v_pk_mov_b32 v[38:39], v[10:11], v[10:11] op_sel:[0,1]
	v_pk_mov_b32 v[36:37], v[8:9], v[8:9] op_sel:[0,1]
	;; [unrolled: 1-line block ×3, first 2 shown]
	s_cbranch_vccnz .LBB0_55
; %bb.48:                               ;   in Loop: Header=BB0_31 Depth=3
	v_cmp_gt_i64_e32 vcc, s[4:5], v[24:25]
	v_pk_mov_b32 v[28:29], v[18:19], v[18:19] op_sel:[0,1]
	s_and_saveexec_b64 s[22:23], vcc
	s_cbranch_execz .LBB0_54
; %bb.49:                               ;   in Loop: Header=BB0_31 Depth=3
	v_mov_b32_e32 v28, s5
	v_cmp_gt_i64_e32 vcc, s[4:5], v[26:27]
	v_cndmask_b32_e32 v31, v28, v27, vcc
	v_mov_b32_e32 v28, s4
	v_cndmask_b32_e32 v30, v28, v26, vcc
	v_ashrrev_i32_e32 v33, 31, v24
	v_mov_b32_e32 v32, v24
	v_cmp_lt_i64_e32 vcc, v[32:33], v[30:31]
	v_pk_mov_b32 v[28:29], v[18:19], v[18:19] op_sel:[0,1]
	s_and_saveexec_b64 s[24:25], vcc
	s_cbranch_execz .LBB0_53
; %bb.50:                               ;   in Loop: Header=BB0_31 Depth=3
	v_lshlrev_b64 v[28:29], 2, v[18:19]
	v_add_co_u32_e32 v34, vcc, v68, v28
	v_addc_co_u32_e32 v35, vcc, v69, v29, vcc
	s_mov_b64 s[6:7], 0
	v_pk_mov_b32 v[36:37], v[24:25], v[24:25] op_sel:[0,1]
	v_pk_mov_b32 v[28:29], v[18:19], v[18:19] op_sel:[0,1]
.LBB0_51:                               ;   Parent Loop BB0_20 Depth=1
                                        ;     Parent Loop BB0_23 Depth=2
                                        ;       Parent Loop BB0_31 Depth=3
                                        ; =>      This Inner Loop Header: Depth=4
	v_add_co_u32_e32 v28, vcc, 1, v28
	v_addc_co_u32_e32 v29, vcc, 0, v29, vcc
	v_add_co_u32_e32 v32, vcc, s42, v32
	global_store_dword v[34:35], v36, off
	v_add_co_u32_e32 v34, vcc, 4, v34
	v_addc_co_u32_e32 v35, vcc, 0, v35, vcc
	v_ashrrev_i32_e32 v33, 31, v32
	v_cmp_ge_i64_e32 vcc, v[32:33], v[30:31]
	s_or_b64 s[6:7], vcc, s[6:7]
	v_pk_mov_b32 v[36:37], v[32:33], v[32:33] op_sel:[0,1]
	s_andn2_b64 exec, exec, s[6:7]
	s_cbranch_execnz .LBB0_51
; %bb.52:                               ;   in Loop: Header=BB0_31 Depth=3
	s_or_b64 exec, exec, s[6:7]
.LBB0_53:                               ;   in Loop: Header=BB0_31 Depth=3
	s_or_b64 exec, exec, s[24:25]
.LBB0_54:                               ;   in Loop: Header=BB0_31 Depth=3
	s_or_b64 exec, exec, s[22:23]
	v_pk_mov_b32 v[38:39], s[18:19], s[18:19] op_sel:[0,1]
	v_pk_mov_b32 v[36:37], s[4:5], s[4:5] op_sel:[0,1]
.LBB0_55:                               ;   in Loop: Header=BB0_31 Depth=3
	s_mov_b64 vcc, -1
	s_andn2_b64 s[22:23], s[76:77], exec
	s_or_b64 s[24:25], s[86:87], exec
.LBB0_56:                               ;   in Loop: Header=BB0_31 Depth=3
	s_or_b64 exec, exec, s[20:21]
	s_mov_b64 s[84:85], 0
	v_pk_mov_b32 v[34:35], v[22:23], v[22:23] op_sel:[0,1]
	v_pk_mov_b32 v[30:31], v[20:21], v[20:21] op_sel:[0,1]
	s_branch .LBB0_58
.LBB0_57:                               ;   in Loop: Header=BB0_31 Depth=3
	s_mov_b64 s[84:85], -1
	s_mov_b64 s[22:23], s[76:77]
	s_mov_b64 s[24:25], s[86:87]
                                        ; implicit-def: $vcc
                                        ; implicit-def: $vgpr38_vgpr39
                                        ; implicit-def: $vgpr36_vgpr37
                                        ; implicit-def: $vgpr34_vgpr35
                                        ; implicit-def: $vgpr30_vgpr31
                                        ; implicit-def: $vgpr28_vgpr29
.LBB0_58:                               ;   in Loop: Header=BB0_31 Depth=3
	s_andn2_b64 s[6:7], s[82:83], exec
	s_and_b64 s[20:21], vcc, exec
	s_or_b64 s[82:83], s[6:7], s[20:21]
	s_andn2_b64 s[6:7], s[86:87], exec
	s_and_b64 s[20:21], s[24:25], exec
	s_xor_b64 s[92:93], exec, -1
	s_and_b64 s[90:91], s[76:77], exec
	s_and_b64 s[88:89], s[22:23], exec
	s_or_b64 s[86:87], s[6:7], s[20:21]
.LBB0_59:                               ;   in Loop: Header=BB0_31 Depth=3
	s_or_b64 exec, exec, s[94:95]
                                        ; implicit-def: $sgpr20_sgpr21
	s_and_saveexec_b64 s[76:77], s[86:87]
	s_cbranch_execz .LBB0_29
; %bb.60:                               ;   in Loop: Header=BB0_31 Depth=3
	s_xor_b64 s[2:3], s[82:83], -1
	s_and_saveexec_b64 s[6:7], s[2:3]
	s_xor_b64 s[20:21], exec, s[6:7]
	s_cbranch_execz .LBB0_28
; %bb.61:                               ;   in Loop: Header=BB0_31 Depth=3
	v_mov_b32_e32 v33, s41
	v_add_co_u32_e32 v32, vcc, s40, v38
	v_addc_co_u32_e32 v33, vcc, v39, v33, vcc
	v_cmp_le_i64_e32 vcc, v[34:35], v[32:33]
                                        ; implicit-def: $sgpr22_sgpr23
	s_and_saveexec_b64 s[2:3], vcc
	s_xor_b64 s[2:3], exec, s[2:3]
; %bb.62:                               ;   in Loop: Header=BB0_31 Depth=3
	v_cmp_gt_i64_e32 vcc, v[34:35], v[38:39]
	v_cndmask_b32_e32 v39, v39, v33, vcc
	v_cndmask_b32_e32 v38, v38, v32, vcc
	s_and_b64 s[22:23], s[82:83], exec
; %bb.63:                               ;   in Loop: Header=BB0_31 Depth=3
	s_andn2_saveexec_b64 s[24:25], s[2:3]
	s_cbranch_execz .LBB0_27
; %bb.64:                               ;   in Loop: Header=BB0_31 Depth=3
	v_cmp_gt_i64_e32 vcc, s[4:5], v[36:37]
	s_and_saveexec_b64 s[86:87], vcc
	s_cbranch_execz .LBB0_26
; %bb.65:                               ;   in Loop: Header=BB0_31 Depth=3
	v_mov_b32_e32 v32, s5
	v_cmp_gt_i64_e32 vcc, s[4:5], v[38:39]
	v_cndmask_b32_e32 v33, v32, v39, vcc
	v_mov_b32_e32 v32, s4
	v_cndmask_b32_e32 v32, v32, v38, vcc
	v_ashrrev_i32_e32 v37, 31, v36
	v_cmp_lt_i64_e32 vcc, v[36:37], v[32:33]
	s_and_saveexec_b64 s[94:95], vcc
	s_cbranch_execz .LBB0_25
; %bb.66:                               ;   in Loop: Header=BB0_31 Depth=3
	v_lshlrev_b64 v[38:39], 2, v[28:29]
	v_add_co_u32_e32 v38, vcc, v68, v38
	v_addc_co_u32_e32 v39, vcc, v69, v39, vcc
	s_mov_b64 s[6:7], 0
.LBB0_67:                               ;   Parent Loop BB0_20 Depth=1
                                        ;     Parent Loop BB0_23 Depth=2
                                        ;       Parent Loop BB0_31 Depth=3
                                        ; =>      This Inner Loop Header: Depth=4
	global_store_dword v[38:39], v36, off
	v_add_co_u32_e32 v36, vcc, s42, v36
	v_add_co_u32_e32 v28, vcc, 1, v28
	v_addc_co_u32_e32 v29, vcc, 0, v29, vcc
	v_ashrrev_i32_e32 v37, 31, v36
	v_add_co_u32_e32 v38, vcc, 4, v38
	v_cmp_ge_i64_e64 s[2:3], v[36:37], v[32:33]
	s_or_b64 s[6:7], s[2:3], s[6:7]
	v_addc_co_u32_e32 v39, vcc, 0, v39, vcc
	s_andn2_b64 exec, exec, s[6:7]
	s_cbranch_execnz .LBB0_67
	s_branch .LBB0_24
.LBB0_68:                               ;   in Loop: Header=BB0_23 Depth=2
	s_or_b64 exec, exec, s[60:61]
	s_andn2_b64 s[6:7], s[50:51], exec
	s_and_b64 s[20:21], s[64:65], exec
	s_or_b64 s[50:51], s[6:7], s[20:21]
	s_andn2_b64 s[6:7], s[52:53], exec
	s_and_b64 s[20:21], s[62:63], exec
	s_mov_b64 s[2:3], -1
	s_or_b64 s[52:53], s[6:7], s[20:21]
	v_pk_mov_b32 v[18:19], v[16:17], v[16:17] op_sel:[0,1]
                                        ; implicit-def: $sgpr76_sgpr77
	s_and_saveexec_b64 s[6:7], s[58:59]
	s_xor_b64 s[20:21], exec, s[6:7]
	s_cbranch_execz .LBB0_22
; %bb.69:                               ;   in Loop: Header=BB0_23 Depth=2
	v_cmp_lt_i64_e32 vcc, v[16:17], v[56:57]
	s_and_saveexec_b64 s[2:3], vcc
	s_cbranch_execz .LBB0_21
; %bb.70:                               ;   in Loop: Header=BB0_23 Depth=2
	v_lshlrev_b64 v[18:19], 2, v[4:5]
	v_add_co_u32_e32 v18, vcc, v64, v18
	v_addc_co_u32_e32 v19, vcc, v65, v19, vcc
	v_add_co_u32_e32 v4, vcc, 1, v4
	v_addc_co_u32_e32 v5, vcc, 0, v5, vcc
	global_store_dword v[18:19], v16, off
	s_branch .LBB0_21
.LBB0_71:                               ;   in Loop: Header=BB0_20 Depth=1
	s_or_b64 exec, exec, s[48:49]
	s_mov_b64 s[0:1], -1
                                        ; implicit-def: $sgpr76_sgpr77
                                        ; implicit-def: $vgpr16
	s_and_saveexec_b64 s[2:3], s[44:45]
	s_xor_b64 s[2:3], exec, s[2:3]
	s_cbranch_execz .LBB0_19
; %bb.72:                               ;   in Loop: Header=BB0_20 Depth=1
	s_add_u32 s6, s34, 1
	s_addc_u32 s7, s35, 0
	s_lshl_b64 s[0:1], s[34:35], 2
	v_readlane_b32 s20, v71, 0
	v_readlane_b32 s21, v71, 1
	s_add_u32 s0, s20, s0
	s_addc_u32 s1, s21, s1
	global_load_dword v16, v70, s[0:1]
	s_and_b64 s[76:77], s[38:39], exec
	s_xor_b64 s[0:1], exec, -1
	s_mov_b64 s[34:35], s[6:7]
	s_branch .LBB0_19
.LBB0_73:
	s_or_b64 exec, exec, s[26:27]
	s_and_saveexec_b64 s[0:1], s[30:31]
	v_readlane_b32 s44, v71, 2
	v_readlane_b32 s52, v71, 10
	;; [unrolled: 1-line block ×7, first 2 shown]
	s_mov_b64 s[8:9], s[52:53]
	s_xor_b64 s[0:1], exec, s[0:1]
	s_mov_b64 s[10:11], s[54:55]
	s_mov_b64 s[12:13], s[56:57]
	v_readlane_b32 s45, v71, 3
	v_readlane_b32 s46, v71, 4
	;; [unrolled: 1-line block ×9, first 2 shown]
	s_cbranch_execz .LBB0_77
; %bb.74:
	v_cmp_gt_i64_e32 vcc, s[4:5], v[18:19]
	s_and_b64 s[6:7], s[16:17], vcc
	s_and_saveexec_b64 s[2:3], s[6:7]
	s_cbranch_execz .LBB0_76
; %bb.75:
	v_add_co_u32_e32 v0, vcc, 1, v4
	v_lshlrev_b64 v[4:5], 2, v[4:5]
	v_add_co_u32_e32 v4, vcc, v64, v4
	v_addc_co_u32_e32 v5, vcc, v65, v5, vcc
	global_store_dword v[4:5], v18, off
	v_pk_mov_b32 v[4:5], v[0:1], v[0:1] op_sel:[0,1]
.LBB0_76:
	s_or_b64 exec, exec, s[2:3]
.LBB0_77:
	s_or_b64 exec, exec, s[0:1]
	v_cmp_gt_i64_e32 vcc, s[4:5], v[48:49]
	s_and_saveexec_b64 s[2:3], vcc
	s_cbranch_execz .LBB0_83
; %bb.78:
	v_mov_b32_e32 v0, s5
	v_cmp_gt_i64_e32 vcc, s[4:5], v[50:51]
	v_cndmask_b32_e32 v1, v0, v51, vcc
	v_mov_b32_e32 v0, s4
	v_cndmask_b32_e32 v0, v0, v50, vcc
	v_ashrrev_i32_e32 v49, 31, v48
	v_cmp_lt_i64_e32 vcc, v[48:49], v[0:1]
	s_and_saveexec_b64 s[4:5], vcc
	s_cbranch_execz .LBB0_82
; %bb.79:
	v_lshlrev_b64 v[8:9], 2, v[46:47]
	v_add_co_u32_e32 v5, vcc, v6, v8
	v_addc_co_u32_e32 v7, vcc, v7, v9, vcc
	v_mov_b32_e32 v8, s11
	v_add_co_u32_e32 v6, vcc, s10, v5
	v_addc_co_u32_e32 v7, vcc, v8, v7, vcc
	s_mov_b64 s[6:7], 0
.LBB0_80:                               ; =>This Inner Loop Header: Depth=1
	v_add_co_u32_e32 v46, vcc, 1, v46
	v_addc_co_u32_e32 v47, vcc, 0, v47, vcc
	global_store_dword v[6:7], v48, off
	v_add_co_u32_e32 v48, vcc, s42, v48
	v_ashrrev_i32_e32 v49, 31, v48
	v_add_co_u32_e32 v6, vcc, 4, v6
	v_cmp_ge_i64_e64 s[0:1], v[48:49], v[0:1]
	s_or_b64 s[6:7], s[0:1], s[6:7]
	v_addc_co_u32_e32 v7, vcc, 0, v7, vcc
	s_andn2_b64 exec, exec, s[6:7]
	s_cbranch_execnz .LBB0_80
; %bb.81:
	s_or_b64 exec, exec, s[6:7]
.LBB0_82:
	s_or_b64 exec, exec, s[4:5]
.LBB0_83:
	s_or_b64 exec, exec, s[2:3]
	v_lshlrev_b64 v[0:1], 2, v[2:3]
	v_mov_b32_e32 v3, s9
	v_add_co_u32_e32 v2, vcc, s8, v0
	v_addc_co_u32_e32 v3, vcc, v3, v1, vcc
	v_mov_b32_e32 v5, s13
	v_add_co_u32_e32 v0, vcc, s12, v0
	v_addc_co_u32_e32 v1, vcc, v5, v1, vcc
	global_store_dword v[2:3], v46, off
	global_store_dword v[0:1], v4, off
.LBB0_84:
	s_endpgm
	.section	.rodata,"a",@progbits
	.p2align	6, 0x0
	.amdhsa_kernel _Z37convert_vertical_slash_indexes_kernelPKiS0_S0_S0_PiS1_S1_S1_llllllb
		.amdhsa_group_segment_fixed_size 0
		.amdhsa_private_segment_fixed_size 0
		.amdhsa_kernarg_size 376
		.amdhsa_user_sgpr_count 6
		.amdhsa_user_sgpr_private_segment_buffer 1
		.amdhsa_user_sgpr_dispatch_ptr 0
		.amdhsa_user_sgpr_queue_ptr 0
		.amdhsa_user_sgpr_kernarg_segment_ptr 1
		.amdhsa_user_sgpr_dispatch_id 0
		.amdhsa_user_sgpr_flat_scratch_init 0
		.amdhsa_user_sgpr_kernarg_preload_length 0
		.amdhsa_user_sgpr_kernarg_preload_offset 0
		.amdhsa_user_sgpr_private_segment_size 0
		.amdhsa_uses_dynamic_stack 0
		.amdhsa_system_sgpr_private_segment_wavefront_offset 0
		.amdhsa_system_sgpr_workgroup_id_x 1
		.amdhsa_system_sgpr_workgroup_id_y 1
		.amdhsa_system_sgpr_workgroup_id_z 1
		.amdhsa_system_sgpr_workgroup_info 0
		.amdhsa_system_vgpr_workitem_id 0
		.amdhsa_next_free_vgpr 72
		.amdhsa_next_free_sgpr 96
		.amdhsa_accum_offset 72
		.amdhsa_reserve_vcc 1
		.amdhsa_reserve_flat_scratch 0
		.amdhsa_float_round_mode_32 0
		.amdhsa_float_round_mode_16_64 0
		.amdhsa_float_denorm_mode_32 3
		.amdhsa_float_denorm_mode_16_64 3
		.amdhsa_dx10_clamp 1
		.amdhsa_ieee_mode 1
		.amdhsa_fp16_overflow 0
		.amdhsa_tg_split 0
		.amdhsa_exception_fp_ieee_invalid_op 0
		.amdhsa_exception_fp_denorm_src 0
		.amdhsa_exception_fp_ieee_div_zero 0
		.amdhsa_exception_fp_ieee_overflow 0
		.amdhsa_exception_fp_ieee_underflow 0
		.amdhsa_exception_fp_ieee_inexact 0
		.amdhsa_exception_int_div_zero 0
	.end_amdhsa_kernel
	.text
.Lfunc_end0:
	.size	_Z37convert_vertical_slash_indexes_kernelPKiS0_S0_S0_PiS1_S1_S1_llllllb, .Lfunc_end0-_Z37convert_vertical_slash_indexes_kernelPKiS0_S0_S0_PiS1_S1_S1_llllllb
                                        ; -- End function
	.section	.AMDGPU.csdata,"",@progbits
; Kernel info:
; codeLenInByte = 3512
; NumSgprs: 100
; NumVgprs: 72
; NumAgprs: 0
; TotalNumVgprs: 72
; ScratchSize: 0
; MemoryBound: 0
; FloatMode: 240
; IeeeMode: 1
; LDSByteSize: 0 bytes/workgroup (compile time only)
; SGPRBlocks: 12
; VGPRBlocks: 8
; NumSGPRsForWavesPerEU: 100
; NumVGPRsForWavesPerEU: 72
; AccumOffset: 72
; Occupancy: 7
; WaveLimiterHint : 0
; COMPUTE_PGM_RSRC2:SCRATCH_EN: 0
; COMPUTE_PGM_RSRC2:USER_SGPR: 6
; COMPUTE_PGM_RSRC2:TRAP_HANDLER: 0
; COMPUTE_PGM_RSRC2:TGID_X_EN: 1
; COMPUTE_PGM_RSRC2:TGID_Y_EN: 1
; COMPUTE_PGM_RSRC2:TGID_Z_EN: 1
; COMPUTE_PGM_RSRC2:TIDIG_COMP_CNT: 0
; COMPUTE_PGM_RSRC3_GFX90A:ACCUM_OFFSET: 17
; COMPUTE_PGM_RSRC3_GFX90A:TG_SPLIT: 0
	.text
	.protected	_Z47convert_vertical_slash_indexes_kernel_mergeheadPKiS0_S0_S0_S0_S0_PiS1_S1_S1_llllllb ; -- Begin function _Z47convert_vertical_slash_indexes_kernel_mergeheadPKiS0_S0_S0_S0_S0_PiS1_S1_S1_llllllb
	.globl	_Z47convert_vertical_slash_indexes_kernel_mergeheadPKiS0_S0_S0_S0_S0_PiS1_S1_S1_llllllb
	.p2align	8
	.type	_Z47convert_vertical_slash_indexes_kernel_mergeheadPKiS0_S0_S0_S0_S0_PiS1_S1_S1_llllllb,@function
_Z47convert_vertical_slash_indexes_kernel_mergeheadPKiS0_S0_S0_S0_S0_PiS1_S1_S1_llllllb: ; @_Z47convert_vertical_slash_indexes_kernel_mergeheadPKiS0_S0_S0_S0_S0_PiS1_S1_S1_llllllb
; %bb.0:
	s_load_dwordx16 s[52:67], s[4:5], 0x0
	s_mov_b32 s2, s7
	s_ashr_i32 s3, s7, 31
	s_lshl_b64 s[12:13], s[2:3], 2
	s_waitcnt lgkmcnt(0)
	s_add_u32 s0, s52, s12
	s_addc_u32 s1, s53, s13
	s_load_dword s10, s[0:1], 0x0
	s_load_dword s7, s[4:5], 0x94
	s_load_dwordx16 s[36:51], s[4:5], 0x40
	s_waitcnt lgkmcnt(0)
	s_ashr_i32 s11, s10, 31
	s_and_b32 s0, s7, 0xffff
	s_mul_i32 s8, s8, s0
	v_add_u32_e32 v2, s8, v0
	v_mad_u64_u32 v[0:1], s[0:1], v2, s44, 0
	v_mov_b32_e32 v4, v1
	v_mad_u64_u32 v[4:5], s[0:1], v2, s45, v[4:5]
	v_mov_b32_e32 v1, v4
	v_cmp_gt_i64_e32 vcc, s[10:11], v[0:1]
	s_and_saveexec_b64 s[0:1], vcc
	s_cbranch_execz .LBB1_84
; %bb.1:
	s_load_dword s4, s[4:5], 0x80
	s_mul_i32 s7, s2, s41
	s_mul_i32 s3, s3, s40
                                        ; implicit-def: $vgpr71 : SGPR spill to VGPR lane
	v_mov_b32_e32 v3, s45
	v_add_co_u32_e32 v12, vcc, s44, v0
	s_waitcnt lgkmcnt(0)
	s_bitcmp1_b32 s4, 0
	s_cselect_b64 s[8:9], -1, 0
	s_add_u32 s4, s54, s12
	s_addc_u32 s5, s55, s13
	s_load_dword s4, s[4:5], 0x0
	s_mul_hi_u32 s5, s2, s40
	s_add_i32 s5, s5, s7
	s_add_i32 s3, s5, s3
	s_mul_i32 s2, s2, s40
	s_waitcnt lgkmcnt(0)
	s_ashr_i32 s5, s4, 31
	s_ashr_i32 s7, s6, 31
	s_add_u32 s25, s2, s6
	s_addc_u32 s26, s3, s7
	s_mul_i32 s2, s25, s49
	s_mul_hi_u32 s3, s25, s48
	s_add_i32 s2, s3, s2
	s_mul_i32 s3, s26, s48
	s_add_i32 s3, s2, s3
	s_mul_i32 s2, s25, s48
	s_lshl_b64 s[2:3], s[2:3], 2
	s_add_u32 s16, s56, s2
	s_addc_u32 s17, s57, s3
	s_mul_i32 s2, s25, s51
	s_mul_hi_u32 s3, s25, s50
	s_add_i32 s2, s3, s2
	s_mul_i32 s3, s26, s50
	s_add_i32 s3, s2, s3
	s_mul_i32 s2, s25, s50
	s_lshl_b64 s[2:3], s[2:3], 2
	s_add_u32 s14, s58, s2
	s_addc_u32 s15, s59, s3
	s_lshl_b64 s[12:13], s[6:7], 2
	s_add_u32 s6, s62, s12
	s_addc_u32 s7, s63, s13
	s_load_dword s6, s[6:7], 0x0
	v_writelane_b32 v71, s16, 0
	s_load_dword s18, s[14:15], 0x0
	s_load_dword s24, s[16:17], 0x0
	v_addc_co_u32_e32 v13, vcc, v1, v3, vcc
	s_waitcnt lgkmcnt(0)
	s_ashr_i32 s7, s6, 31
	s_add_u32 s12, s60, s12
	s_addc_u32 s13, s61, s13
	s_load_dword s30, s[12:13], 0x0
	s_mov_b64 s[0:1], -1
	s_ashr_i32 s19, s18, 31
	s_and_b64 vcc, exec, s[8:9]
	v_writelane_b32 v71, s17, 1
                                        ; kill: killed $sgpr12 killed $sgpr13
	s_cbranch_vccnz .LBB1_7
; %bb.2:
	v_mov_b32_e32 v3, s5
	v_add_co_u32_e32 v4, vcc, s4, v12
	v_addc_co_u32_e32 v5, vcc, v13, v3, vcc
	s_cmp_gt_i32 s6, 1
	v_cmp_ge_i64_e32 vcc, s[18:19], v[4:5]
	s_cselect_b64 s[0:1], -1, 0
	v_mov_b32_e32 v32, 1
	s_and_b64 s[0:1], vcc, s[0:1]
	v_pk_mov_b32 v[8:9], s[18:19], s[18:19] op_sel:[0,1]
	v_mov_b32_e32 v33, 0
	s_and_saveexec_b64 s[12:13], s[0:1]
	s_cbranch_execz .LBB1_6
; %bb.3:
	s_add_u32 s0, s2, s58
	s_addc_u32 s1, s3, s59
	s_add_u32 s20, s0, 4
	s_addc_u32 s21, s1, 0
	s_mov_b64 s[16:17], 1
	s_mov_b64 s[22:23], 0
	v_pk_mov_b32 v[6:7], s[6:7], s[6:7] op_sel:[0,1]
.LBB1_4:                                ; =>This Inner Loop Header: Depth=1
	s_load_dword s28, s[20:21], 0x0
	s_add_u32 s16, s16, 1
	s_addc_u32 s17, s17, 0
	v_cmp_ge_i64_e32 vcc, s[16:17], v[6:7]
	v_pk_mov_b32 v[32:33], s[16:17], s[16:17] op_sel:[0,1]
	s_waitcnt lgkmcnt(0)
	s_ashr_i32 s29, s28, 31
	v_cmp_lt_i64_e64 s[0:1], s[28:29], v[4:5]
	s_or_b64 s[0:1], s[0:1], vcc
	s_add_u32 s20, s20, 4
	s_addc_u32 s21, s21, 0
	s_and_b64 s[0:1], exec, s[0:1]
	s_or_b64 s[22:23], s[0:1], s[22:23]
	v_pk_mov_b32 v[8:9], s[28:29], s[28:29] op_sel:[0,1]
	s_andn2_b64 exec, exec, s[22:23]
	s_cbranch_execnz .LBB1_4
; %bb.5:
	s_or_b64 exec, exec, s[22:23]
.LBB1_6:
	s_or_b64 exec, exec, s[12:13]
	v_cmp_ge_i64_e64 s[12:13], v[4:5], v[8:9]
	v_sub_co_u32_e32 v4, vcc, v4, v8
	v_subb_co_u32_e32 v5, vcc, v5, v9, vcc
	v_mov_b32_e32 v3, 0
	s_branch .LBB1_13
.LBB1_7:
                                        ; implicit-def: $sgpr12_sgpr13
                                        ; implicit-def: $vgpr32_vgpr33
                                        ; implicit-def: $vgpr4_vgpr5
	v_mov_b32_e32 v3, 0
	s_and_b64 vcc, exec, s[0:1]
	s_cbranch_vccz .LBB1_13
; %bb.8:
	s_sub_u32 s0, s4, s10
	s_subb_u32 s1, s5, s11
	v_mov_b32_e32 v5, s1
	v_add_co_u32_e32 v4, vcc, s0, v12
	v_addc_co_u32_e32 v5, vcc, v13, v5, vcc
	s_cmp_gt_i32 s6, 1
	v_cmp_ge_i64_e32 vcc, s[18:19], v[4:5]
	s_cselect_b64 s[0:1], -1, 0
	v_mov_b32_e32 v32, 1
	s_and_b64 s[0:1], vcc, s[0:1]
	v_pk_mov_b32 v[8:9], s[18:19], s[18:19] op_sel:[0,1]
	v_mov_b32_e32 v33, 0
	s_and_saveexec_b64 s[12:13], s[0:1]
	s_cbranch_execz .LBB1_12
; %bb.9:
	s_add_u32 s0, s2, s58
	s_addc_u32 s1, s3, s59
	s_add_u32 s2, s0, 4
	s_addc_u32 s3, s1, 0
	s_mov_b64 s[16:17], 1
	s_mov_b64 s[18:19], 0
	v_pk_mov_b32 v[6:7], s[6:7], s[6:7] op_sel:[0,1]
.LBB1_10:                               ; =>This Inner Loop Header: Depth=1
	s_load_dword s20, s[2:3], 0x0
	s_add_u32 s16, s16, 1
	s_addc_u32 s17, s17, 0
	v_cmp_ge_i64_e32 vcc, s[16:17], v[6:7]
	v_pk_mov_b32 v[32:33], s[16:17], s[16:17] op_sel:[0,1]
	s_waitcnt lgkmcnt(0)
	s_ashr_i32 s21, s20, 31
	v_cmp_lt_i64_e64 s[0:1], s[20:21], v[4:5]
	s_or_b64 s[0:1], s[0:1], vcc
	s_add_u32 s2, s2, 4
	s_addc_u32 s3, s3, 0
	s_and_b64 s[0:1], exec, s[0:1]
	s_or_b64 s[18:19], s[0:1], s[18:19]
	v_pk_mov_b32 v[8:9], s[20:21], s[20:21] op_sel:[0,1]
	s_andn2_b64 exec, exec, s[18:19]
	s_cbranch_execnz .LBB1_10
; %bb.11:
	s_or_b64 exec, exec, s[18:19]
.LBB1_12:
	s_or_b64 exec, exec, s[12:13]
	v_cmp_ge_i64_e64 s[12:13], v[4:5], v[8:9]
	v_sub_co_u32_e32 v4, vcc, v4, v8
	v_subb_co_u32_e32 v5, vcc, v5, v9, vcc
.LBB1_13:
	v_mov_b32_e32 v6, s45
	v_cmp_lt_i64_e32 vcc, s[44:45], v[4:5]
	v_cndmask_b32_e32 v41, v6, v5, vcc
	v_mov_b32_e32 v5, s44
	v_cndmask_b32_e32 v40, v5, v4, vcc
	v_mov_b32_e32 v4, s45
	v_subrev_co_u32_e32 v42, vcc, s44, v40
	s_xor_b64 s[18:19], s[8:9], -1
	s_mov_b64 s[2:3], -1
	s_xor_b64 s[12:13], s[12:13], -1
	v_subb_co_u32_e32 v43, vcc, v41, v4, vcc
	v_pk_mov_b32 v[44:45], v[40:41], v[40:41] op_sel:[0,1]
	s_and_saveexec_b64 s[0:1], s[12:13]
	s_cbranch_execz .LBB1_18
; %bb.14:
	s_and_b64 vcc, exec, s[18:19]
                                        ; implicit-def: $sgpr12_sgpr13
	s_cbranch_vccz .LBB1_16
; %bb.15:
	s_add_u32 s12, s4, s46
	s_addc_u32 s13, s5, s47
	s_mov_b64 s[2:3], 0
.LBB1_16:
	s_andn2_b64 vcc, exec, s[2:3]
	v_pk_mov_b32 v[44:45], s[12:13], s[12:13] op_sel:[0,1]
	v_pk_mov_b32 v[42:43], s[4:5], s[4:5] op_sel:[0,1]
	s_cbranch_vccnz .LBB1_18
; %bb.17:
	s_sub_u32 s2, s4, s10
	s_subb_u32 s3, s5, s11
	v_mov_b32_e32 v4, s3
	v_add_co_u32_e32 v42, vcc, s2, v12
	v_addc_co_u32_e32 v43, vcc, v13, v4, vcc
	v_mov_b32_e32 v4, s47
	v_add_co_u32_e32 v44, vcc, s46, v42
	v_addc_co_u32_e32 v45, vcc, v43, v4, vcc
.LBB1_18:
	s_or_b64 exec, exec, s[0:1]
	s_mul_i32 s26, s26, s42
	s_mul_i32 s0, s25, s43
	v_mov_b32_e32 v4, s42
	s_add_i32 s2, s0, s26
	v_mad_u64_u32 v[2:3], s[0:1], s25, v4, v[2:3]
	v_add_u32_e32 v3, s2, v3
	v_mul_lo_u32 v6, v3, s48
	v_mul_lo_u32 v7, v2, s49
	v_mad_u64_u32 v[4:5], s[0:1], v2, s48, 0
	v_add3_u32 v5, v5, v7, v6
	v_lshlrev_b64 v[4:5], 2, v[4:5]
	s_waitcnt lgkmcnt(0)
	s_ashr_i32 s3, s30, 31
	v_mov_b32_e32 v6, s39
	v_add_co_u32_e32 v64, vcc, s38, v4
	s_sub_u32 s0, s4, s10
	v_addc_co_u32_e32 v65, vcc, v6, v5, vcc
	s_subb_u32 s1, s5, s11
	v_mov_b32_e32 v4, s5
	v_add_co_u32_e32 v66, vcc, s4, v12
	s_add_u32 s20, s4, s46
	v_addc_co_u32_e32 v67, vcc, v13, v4, vcc
	s_addc_u32 s21, s5, s47
	v_mov_b32_e32 v4, s1
	v_add_co_u32_e32 v8, vcc, s0, v12
	s_and_b64 s[0:1], exec, s[8:9]
	s_mov_b32 s2, s30
	s_cselect_b32 s1, s10, 0
	s_mov_b64 s[28:29], s[64:65]
	s_cselect_b32 s0, s11, 0
	s_sub_u32 s1, s20, s1
	s_mov_b64 s[30:31], s[66:67]
	s_subb_u32 s0, s21, s0
	v_writelane_b32 v71, s16, 2
	v_writelane_b32 v71, s17, 3
	;; [unrolled: 1-line block ×7, first 2 shown]
	v_addc_co_u32_e32 v9, vcc, v4, v13, vcc
	v_writelane_b32 v71, s23, 9
	v_mov_b32_e32 v4, s47
	v_add_co_u32_e32 v10, vcc, s46, v8
	v_writelane_b32 v71, s24, 10
	v_addc_co_u32_e32 v11, vcc, v9, v4, vcc
	v_writelane_b32 v71, s25, 11
	v_mov_b32_e32 v4, s0
	v_add_co_u32_e32 v12, vcc, s1, v12
	v_writelane_b32 v71, s26, 12
	v_addc_co_u32_e32 v13, vcc, v4, v13, vcc
	v_mul_lo_u32 v6, s50, v3
	v_mul_lo_u32 v7, s51, v2
	v_mad_u64_u32 v[4:5], s[0:1], s50, v2, 0
	v_writelane_b32 v71, s27, 13
	v_add3_u32 v5, v5, v6, v7
	v_writelane_b32 v71, s28, 14
	v_lshlrev_b64 v[6:7], 2, v[4:5]
	v_writelane_b32 v71, s29, 15
	v_mov_b32_e32 v4, s67
	v_writelane_b32 v71, s30, 16
	v_add_co_u32_e32 v68, vcc, s66, v6
	v_writelane_b32 v71, s31, 17
	v_addc_co_u32_e32 v69, vcc, v4, v7, vcc
	v_pk_mov_b32 v[4:5], 0, 0
	s_mov_b64 s[76:77], 0
	s_mov_b64 s[30:31], 1
	;; [unrolled: 1-line block ×3, first 2 shown]
	v_mov_b32_e32 v16, s24
	v_writelane_b32 v71, s2, 18
	v_pk_mov_b32 v[14:15], s[2:3], s[2:3] op_sel:[0,1]
	v_mov_b32_e32 v70, 0
	v_pk_mov_b32 v[52:53], v[4:5], v[4:5] op_sel:[0,1]
	v_writelane_b32 v71, s3, 19
                                        ; implicit-def: $sgpr28_sgpr29
	s_branch .LBB1_20
.LBB1_19:                               ;   in Loop: Header=BB1_20 Depth=1
	s_or_b64 exec, exec, s[2:3]
	s_and_b64 s[0:1], exec, s[0:1]
	s_or_b64 s[22:23], s[0:1], s[22:23]
	s_andn2_b64 s[0:1], s[28:29], exec
	s_and_b64 s[2:3], s[34:35], exec
	s_or_b64 s[28:29], s[0:1], s[2:3]
	s_andn2_b64 exec, exec, s[22:23]
	s_cbranch_execz .LBB1_73
.LBB1_20:                               ; =>This Loop Header: Depth=1
                                        ;     Child Loop BB1_23 Depth 2
                                        ;       Child Loop BB1_31 Depth 3
                                        ;         Child Loop BB1_51 Depth 4
                                        ;         Child Loop BB1_67 Depth 4
	v_readlane_b32 s0, v71, 18
	v_readlane_b32 s1, v71, 19
	s_cmp_lg_u64 s[30:31], s[0:1]
	s_waitcnt vmcnt(0)
	v_ashrrev_i32_e32 v17, 31, v16
	s_cselect_b64 s[42:43], -1, 0
	v_cmp_lt_i64_e64 s[0:1], s[30:31], v[14:15]
	s_mov_b64 s[48:49], 0
	v_pk_mov_b32 v[62:63], v[52:53], v[52:53] op_sel:[0,1]
	v_pk_mov_b32 v[58:59], v[32:33], v[32:33] op_sel:[0,1]
	;; [unrolled: 1-line block ×5, first 2 shown]
                                        ; implicit-def: $sgpr40_sgpr41
                                        ; implicit-def: $sgpr38_sgpr39
                                        ; implicit-def: $sgpr34_sgpr35
                                        ; implicit-def: $sgpr52_sgpr53
                                        ; implicit-def: $sgpr50_sgpr51
	s_branch .LBB1_23
.LBB1_21:                               ;   in Loop: Header=BB1_23 Depth=2
	s_or_b64 exec, exec, s[2:3]
	s_and_b64 s[76:77], s[56:57], exec
	s_andn2_b64 s[2:3], s[52:53], exec
	s_andn2_b64 s[54:55], s[54:55], exec
	;; [unrolled: 1-line block ×3, first 2 shown]
	s_or_b64 s[52:53], s[2:3], s[76:77]
	s_orn2_b64 s[2:3], s[0:1], exec
                                        ; implicit-def: $vgpr50_vgpr51
                                        ; implicit-def: $vgpr48_vgpr49
                                        ; implicit-def: $vgpr46_vgpr47
                                        ; implicit-def: $vgpr18_vgpr19
	v_pk_mov_b32 v[52:53], v[62:63], v[62:63] op_sel:[0,1]
	v_pk_mov_b32 v[32:33], v[58:59], v[58:59] op_sel:[0,1]
	;; [unrolled: 1-line block ×5, first 2 shown]
.LBB1_22:                               ;   in Loop: Header=BB1_23 Depth=2
	s_or_b64 exec, exec, s[12:13]
	s_xor_b64 s[12:13], s[54:55], -1
	s_and_b64 s[2:3], exec, s[2:3]
	s_or_b64 s[48:49], s[2:3], s[48:49]
	s_andn2_b64 s[2:3], s[34:35], exec
	s_and_b64 s[16:17], s[50:51], exec
	s_or_b64 s[34:35], s[2:3], s[16:17]
	s_andn2_b64 s[2:3], s[38:39], exec
	s_and_b64 s[16:17], s[52:53], exec
	;; [unrolled: 3-line block ×3, first 2 shown]
	s_or_b64 s[40:41], s[2:3], s[12:13]
	v_pk_mov_b32 v[16:17], v[12:13], v[12:13] op_sel:[0,1]
	s_andn2_b64 exec, exec, s[48:49]
	s_cbranch_execz .LBB1_71
.LBB1_23:                               ;   Parent Loop BB1_20 Depth=1
                                        ; =>  This Loop Header: Depth=2
                                        ;       Child Loop BB1_31 Depth 3
                                        ;         Child Loop BB1_51 Depth 4
                                        ;         Child Loop BB1_67 Depth 4
	s_mov_b64 s[60:61], 0
	v_pk_mov_b32 v[18:19], v[62:63], v[62:63] op_sel:[0,1]
	v_pk_mov_b32 v[20:21], v[58:59], v[58:59] op_sel:[0,1]
	;; [unrolled: 1-line block ×5, first 2 shown]
                                        ; implicit-def: $sgpr56_sgpr57
                                        ; implicit-def: $sgpr54_sgpr55
                                        ; implicit-def: $sgpr64_sgpr65
                                        ; implicit-def: $sgpr62_sgpr63
                                        ; implicit-def: $sgpr58_sgpr59
                                        ; implicit-def: $sgpr66_sgpr67
                                        ; implicit-def: $sgpr72_sgpr73
                                        ; implicit-def: $sgpr68_sgpr69
                                        ; implicit-def: $sgpr70_sgpr71
                                        ; implicit-def: $sgpr74_sgpr75
	s_branch .LBB1_31
.LBB1_24:                               ;   in Loop: Header=BB1_31 Depth=3
	s_or_b64 exec, exec, s[16:17]
.LBB1_25:                               ;   in Loop: Header=BB1_31 Depth=3
	s_or_b64 exec, exec, s[94:95]
.LBB1_26:                               ;   in Loop: Header=BB1_31 Depth=3
	s_or_b64 exec, exec, s[12:13]
	v_mov_b32_e32 v32, s45
	v_subrev_co_u32_e32 v36, vcc, s44, v34
	s_andn2_b64 s[2:3], s[26:27], exec
	s_and_b64 s[12:13], s[82:83], exec
	v_subb_co_u32_e32 v37, vcc, v35, v32, vcc
	s_or_b64 s[26:27], s[2:3], s[12:13]
	v_pk_mov_b32 v[38:39], v[34:35], v[34:35] op_sel:[0,1]
.LBB1_27:                               ;   in Loop: Header=BB1_31 Depth=3
	s_or_b64 exec, exec, s[86:87]
	s_andn2_b64 s[2:3], s[82:83], exec
	s_and_b64 s[12:13], s[26:27], exec
	s_or_b64 s[82:83], s[2:3], s[12:13]
.LBB1_28:                               ;   in Loop: Header=BB1_31 Depth=3
	s_or_b64 exec, exec, s[24:25]
	s_and_b64 s[12:13], s[82:83], exec
	s_andn2_b64 s[88:89], s[88:89], exec
	s_xor_b64 s[2:3], exec, -1
.LBB1_29:                               ;   in Loop: Header=BB1_31 Depth=3
	s_or_b64 exec, exec, s[76:77]
	s_andn2_b64 s[16:17], s[74:75], exec
	s_and_b64 s[12:13], s[12:13], exec
	s_or_b64 s[74:75], s[16:17], s[12:13]
	s_andn2_b64 s[12:13], s[70:71], exec
	s_and_b64 s[16:17], s[92:93], exec
	s_or_b64 s[70:71], s[12:13], s[16:17]
	;; [unrolled: 3-line block ×5, first 2 shown]
	v_pk_mov_b32 v[44:45], v[26:27], v[26:27] op_sel:[0,1]
	v_pk_mov_b32 v[42:43], v[24:25], v[24:25] op_sel:[0,1]
	;; [unrolled: 1-line block ×8, first 2 shown]
                                        ; implicit-def: $sgpr76_sgpr77
.LBB1_30:                               ;   in Loop: Header=BB1_31 Depth=3
	s_or_b64 exec, exec, s[78:79]
	s_and_b64 s[2:3], exec, s[66:67]
	s_or_b64 s[60:61], s[2:3], s[60:61]
	s_andn2_b64 s[2:3], s[76:77], exec
	s_and_b64 s[12:13], s[74:75], exec
	s_or_b64 s[76:77], s[2:3], s[12:13]
	s_andn2_b64 s[2:3], s[58:59], exec
	s_and_b64 s[12:13], s[70:71], exec
	;; [unrolled: 3-line block ×6, first 2 shown]
	v_pk_mov_b32 v[54:55], v[26:27], v[26:27] op_sel:[0,1]
	v_pk_mov_b32 v[56:57], v[24:25], v[24:25] op_sel:[0,1]
	;; [unrolled: 1-line block ×5, first 2 shown]
	s_or_b64 s[56:57], s[2:3], s[12:13]
	v_pk_mov_b32 v[18:19], v[28:29], v[28:29] op_sel:[0,1]
	v_pk_mov_b32 v[20:21], v[30:31], v[30:31] op_sel:[0,1]
	;; [unrolled: 1-line block ×5, first 2 shown]
	s_andn2_b64 exec, exec, s[60:61]
	s_cbranch_execz .LBB1_68
.LBB1_31:                               ;   Parent Loop BB1_20 Depth=1
                                        ;     Parent Loop BB1_23 Depth=2
                                        ; =>    This Loop Header: Depth=3
                                        ;         Child Loop BB1_51 Depth 4
                                        ;         Child Loop BB1_67 Depth 4
	s_andn2_b64 s[2:3], s[72:73], exec
	s_and_b64 s[12:13], s[76:77], exec
	v_cmp_ge_i64_e32 vcc, v[16:17], v[26:27]
	s_andn2_b64 s[74:75], s[74:75], exec
	s_or_b64 s[70:71], s[70:71], exec
	s_andn2_b64 s[68:69], s[68:69], exec
	s_or_b64 s[72:73], s[2:3], s[12:13]
	s_or_b64 s[66:67], s[66:67], exec
                                        ; implicit-def: $vgpr38_vgpr39
                                        ; implicit-def: $vgpr36_vgpr37
                                        ; implicit-def: $vgpr34_vgpr35
                                        ; implicit-def: $vgpr30_vgpr31
                                        ; implicit-def: $vgpr28_vgpr29
                                        ; implicit-def: $vgpr44_vgpr45
                                        ; implicit-def: $vgpr42_vgpr43
                                        ; implicit-def: $vgpr40_vgpr41
                                        ; implicit-def: $vgpr32_vgpr33
                                        ; implicit-def: $vgpr52_vgpr53
                                        ; implicit-def: $sgpr84_sgpr85
                                        ; implicit-def: $vgpr46_vgpr47
                                        ; implicit-def: $vgpr48_vgpr49
                                        ; implicit-def: $vgpr50_vgpr51
                                        ; implicit-def: $sgpr80_sgpr81
	s_and_saveexec_b64 s[78:79], vcc
	s_cbranch_execz .LBB1_30
; %bb.32:                               ;   in Loop: Header=BB1_31 Depth=3
	v_cmp_le_i64_e32 vcc, s[6:7], v[20:21]
	s_or_b64 s[2:3], vcc, s[18:19]
	s_xor_b64 s[2:3], s[2:3], -1
	s_mov_b64 s[24:25], 0
	s_mov_b64 s[26:27], 0
                                        ; implicit-def: $vgpr32_vgpr33
	s_and_saveexec_b64 s[12:13], s[2:3]
	s_xor_b64 s[12:13], exec, s[12:13]
	s_cbranch_execz .LBB1_34
; %bb.33:                               ;   in Loop: Header=BB1_31 Depth=3
	v_lshlrev_b64 v[28:29], 2, v[20:21]
	v_mov_b32_e32 v30, s15
	v_add_co_u32_e64 v28, s[2:3], s14, v28
	v_addc_co_u32_e64 v29, s[2:3], v30, v29, s[2:3]
	global_load_dword v32, v[28:29], off
	s_mov_b64 s[26:27], exec
	s_waitcnt vmcnt(0)
	v_ashrrev_i32_e32 v33, 31, v32
	s_andn2_saveexec_b64 s[12:13], s[12:13]
	s_cbranch_execz .LBB1_38
	s_branch .LBB1_35
.LBB1_34:                               ;   in Loop: Header=BB1_31 Depth=3
	s_andn2_saveexec_b64 s[12:13], s[12:13]
	s_cbranch_execz .LBB1_38
.LBB1_35:                               ;   in Loop: Header=BB1_31 Depth=3
	s_or_b64 s[2:3], vcc, s[8:9]
	s_mov_b64 s[24:25], -1
	s_xor_b64 s[80:81], s[2:3], -1
	s_mov_b64 s[2:3], s[26:27]
                                        ; implicit-def: $vgpr32_vgpr33
	s_and_saveexec_b64 s[16:17], s[80:81]
	s_cbranch_execz .LBB1_37
; %bb.36:                               ;   in Loop: Header=BB1_31 Depth=3
	v_lshlrev_b64 v[28:29], 2, v[20:21]
	v_mov_b32_e32 v30, s15
	v_add_co_u32_e32 v28, vcc, s14, v28
	v_addc_co_u32_e32 v29, vcc, v30, v29, vcc
	global_load_dword v32, v[28:29], off
	s_andn2_b64 s[80:81], s[26:27], exec
	s_waitcnt vmcnt(0)
	v_ashrrev_i32_e32 v33, 31, v32
	v_cmp_le_i64_e64 s[2:3], v[0:1], v[32:33]
	v_cmp_gt_i64_e32 vcc, v[0:1], v[32:33]
	s_and_b64 s[2:3], s[2:3], exec
	s_orn2_b64 s[24:25], vcc, exec
	s_or_b64 s[2:3], s[80:81], s[2:3]
.LBB1_37:                               ;   in Loop: Header=BB1_31 Depth=3
	s_or_b64 exec, exec, s[16:17]
	s_andn2_b64 s[16:17], s[26:27], exec
	s_and_b64 s[2:3], s[2:3], exec
	s_and_b64 s[24:25], s[24:25], exec
	s_or_b64 s[26:27], s[16:17], s[2:3]
.LBB1_38:                               ;   in Loop: Header=BB1_31 Depth=3
	s_or_b64 exec, exec, s[12:13]
	s_mov_b64 s[86:87], 0
                                        ; implicit-def: $sgpr82_sgpr83
                                        ; implicit-def: $vgpr38_vgpr39
                                        ; implicit-def: $vgpr36_vgpr37
                                        ; implicit-def: $vgpr34_vgpr35
                                        ; implicit-def: $vgpr30_vgpr31
                                        ; implicit-def: $vgpr28_vgpr29
	s_and_saveexec_b64 s[2:3], s[26:27]
	s_cbranch_execz .LBB1_44
; %bb.39:                               ;   in Loop: Header=BB1_31 Depth=3
	v_add_co_u32_e32 v30, vcc, 1, v20
	v_addc_co_u32_e32 v31, vcc, 0, v21, vcc
	s_and_b64 vcc, exec, s[18:19]
	s_cbranch_vccz .LBB1_41
; %bb.40:                               ;   in Loop: Header=BB1_31 Depth=3
	v_sub_co_u32_e32 v28, vcc, v66, v32
	v_subb_co_u32_e32 v29, vcc, v67, v33, vcc
	v_mov_b32_e32 v34, s45
	v_cmp_lt_i64_e32 vcc, s[44:45], v[28:29]
	v_cndmask_b32_e32 v35, v34, v29, vcc
	v_mov_b32_e32 v29, s44
	v_cndmask_b32_e32 v34, v29, v28, vcc
	s_and_b64 s[12:13], s[76:77], exec
	s_cbranch_execz .LBB1_42
	s_branch .LBB1_43
.LBB1_41:                               ;   in Loop: Header=BB1_31 Depth=3
                                        ; implicit-def: $sgpr12_sgpr13
                                        ; implicit-def: $vgpr34_vgpr35
.LBB1_42:                               ;   in Loop: Header=BB1_31 Depth=3
	v_mov_b32_e32 v28, s11
	v_add_co_u32_e32 v29, vcc, s10, v32
	v_addc_co_u32_e32 v32, vcc, v28, v33, vcc
	v_sub_co_u32_e32 v28, vcc, v66, v29
	v_subb_co_u32_e32 v29, vcc, v67, v32, vcc
	v_mov_b32_e32 v32, s45
	v_cmp_lt_i64_e32 vcc, s[44:45], v[28:29]
	v_cndmask_b32_e32 v35, v32, v29, vcc
	v_mov_b32_e32 v29, s44
	s_andn2_b64 s[12:13], s[12:13], exec
	s_and_b64 s[16:17], s[76:77], exec
	v_cndmask_b32_e32 v34, v29, v28, vcc
	s_or_b64 s[12:13], s[12:13], s[16:17]
.LBB1_43:                               ;   in Loop: Header=BB1_31 Depth=3
	s_mov_b64 s[86:87], exec
	s_and_b64 s[82:83], s[12:13], exec
	v_pk_mov_b32 v[38:39], v[26:27], v[26:27] op_sel:[0,1]
	v_pk_mov_b32 v[36:37], v[24:25], v[24:25] op_sel:[0,1]
	;; [unrolled: 1-line block ×3, first 2 shown]
.LBB1_44:                               ;   in Loop: Header=BB1_31 Depth=3
	s_or_b64 exec, exec, s[2:3]
	s_mov_b64 s[2:3], -1
	s_mov_b64 s[92:93], -1
                                        ; implicit-def: $sgpr88_sgpr89
                                        ; implicit-def: $sgpr90_sgpr91
                                        ; implicit-def: $sgpr84_sgpr85
                                        ; implicit-def: $sgpr80_sgpr81
	s_and_saveexec_b64 s[94:95], s[24:25]
	s_cbranch_execz .LBB1_59
; %bb.45:                               ;   in Loop: Header=BB1_31 Depth=3
	s_mov_b64 s[80:81], -1
	s_and_b64 vcc, exec, s[42:43]
	s_cbranch_vccz .LBB1_57
; %bb.46:                               ;   in Loop: Header=BB1_31 Depth=3
	v_cmp_le_i64_e32 vcc, v[16:17], v[24:25]
	s_or_b64 s[16:17], vcc, s[18:19]
	s_mov_b64 vcc, s[86:87]
	s_mov_b64 s[26:27], s[76:77]
                                        ; implicit-def: $sgpr12_sgpr13
                                        ; implicit-def: $vgpr38_vgpr39
                                        ; implicit-def: $vgpr36_vgpr37
                                        ; implicit-def: $vgpr28_vgpr29
	s_and_saveexec_b64 s[24:25], s[16:17]
	s_cbranch_execz .LBB1_56
; %bb.47:                               ;   in Loop: Header=BB1_31 Depth=3
	s_andn2_b64 vcc, exec, s[18:19]
	v_pk_mov_b32 v[38:39], v[10:11], v[10:11] op_sel:[0,1]
	v_pk_mov_b32 v[36:37], v[8:9], v[8:9] op_sel:[0,1]
	;; [unrolled: 1-line block ×3, first 2 shown]
	s_cbranch_vccnz .LBB1_55
; %bb.48:                               ;   in Loop: Header=BB1_31 Depth=3
	v_cmp_gt_i64_e32 vcc, s[4:5], v[24:25]
	v_pk_mov_b32 v[28:29], v[18:19], v[18:19] op_sel:[0,1]
	s_and_saveexec_b64 s[12:13], vcc
	s_cbranch_execz .LBB1_54
; %bb.49:                               ;   in Loop: Header=BB1_31 Depth=3
	v_mov_b32_e32 v28, s5
	v_cmp_gt_i64_e32 vcc, s[4:5], v[26:27]
	v_cndmask_b32_e32 v31, v28, v27, vcc
	v_mov_b32_e32 v28, s4
	v_cndmask_b32_e32 v30, v28, v26, vcc
	v_ashrrev_i32_e32 v33, 31, v24
	v_mov_b32_e32 v32, v24
	v_cmp_lt_i64_e32 vcc, v[32:33], v[30:31]
	v_pk_mov_b32 v[28:29], v[18:19], v[18:19] op_sel:[0,1]
	s_and_saveexec_b64 s[26:27], vcc
	s_cbranch_execz .LBB1_53
; %bb.50:                               ;   in Loop: Header=BB1_31 Depth=3
	v_lshlrev_b64 v[28:29], 2, v[18:19]
	v_add_co_u32_e32 v34, vcc, v68, v28
	v_addc_co_u32_e32 v35, vcc, v69, v29, vcc
	s_mov_b64 s[16:17], 0
	v_pk_mov_b32 v[36:37], v[24:25], v[24:25] op_sel:[0,1]
	v_pk_mov_b32 v[28:29], v[18:19], v[18:19] op_sel:[0,1]
.LBB1_51:                               ;   Parent Loop BB1_20 Depth=1
                                        ;     Parent Loop BB1_23 Depth=2
                                        ;       Parent Loop BB1_31 Depth=3
                                        ; =>      This Inner Loop Header: Depth=4
	v_add_co_u32_e32 v28, vcc, 1, v28
	v_addc_co_u32_e32 v29, vcc, 0, v29, vcc
	v_add_co_u32_e32 v32, vcc, s46, v32
	global_store_dword v[34:35], v36, off
	v_add_co_u32_e32 v34, vcc, 4, v34
	v_addc_co_u32_e32 v35, vcc, 0, v35, vcc
	v_ashrrev_i32_e32 v33, 31, v32
	v_cmp_ge_i64_e32 vcc, v[32:33], v[30:31]
	s_or_b64 s[16:17], vcc, s[16:17]
	v_pk_mov_b32 v[36:37], v[32:33], v[32:33] op_sel:[0,1]
	s_andn2_b64 exec, exec, s[16:17]
	s_cbranch_execnz .LBB1_51
; %bb.52:                               ;   in Loop: Header=BB1_31 Depth=3
	s_or_b64 exec, exec, s[16:17]
.LBB1_53:                               ;   in Loop: Header=BB1_31 Depth=3
	s_or_b64 exec, exec, s[26:27]
.LBB1_54:                               ;   in Loop: Header=BB1_31 Depth=3
	s_or_b64 exec, exec, s[12:13]
	v_pk_mov_b32 v[38:39], s[20:21], s[20:21] op_sel:[0,1]
	v_pk_mov_b32 v[36:37], s[4:5], s[4:5] op_sel:[0,1]
.LBB1_55:                               ;   in Loop: Header=BB1_31 Depth=3
	s_mov_b64 s[12:13], -1
	s_andn2_b64 s[26:27], s[76:77], exec
	s_or_b64 vcc, s[86:87], exec
.LBB1_56:                               ;   in Loop: Header=BB1_31 Depth=3
	s_or_b64 exec, exec, s[24:25]
	s_mov_b64 s[84:85], 0
	v_pk_mov_b32 v[34:35], v[22:23], v[22:23] op_sel:[0,1]
	v_pk_mov_b32 v[30:31], v[20:21], v[20:21] op_sel:[0,1]
	s_branch .LBB1_58
.LBB1_57:                               ;   in Loop: Header=BB1_31 Depth=3
	s_mov_b64 s[84:85], -1
	s_mov_b64 s[26:27], s[76:77]
	s_mov_b64 vcc, s[86:87]
                                        ; implicit-def: $sgpr12_sgpr13
                                        ; implicit-def: $vgpr38_vgpr39
                                        ; implicit-def: $vgpr36_vgpr37
                                        ; implicit-def: $vgpr34_vgpr35
                                        ; implicit-def: $vgpr30_vgpr31
                                        ; implicit-def: $vgpr28_vgpr29
.LBB1_58:                               ;   in Loop: Header=BB1_31 Depth=3
	s_andn2_b64 s[16:17], s[82:83], exec
	s_and_b64 s[12:13], s[12:13], exec
	s_or_b64 s[82:83], s[16:17], s[12:13]
	s_andn2_b64 s[12:13], s[86:87], exec
	s_and_b64 s[16:17], vcc, exec
	s_xor_b64 s[92:93], exec, -1
	s_and_b64 s[90:91], s[76:77], exec
	s_and_b64 s[88:89], s[26:27], exec
	s_or_b64 s[86:87], s[12:13], s[16:17]
.LBB1_59:                               ;   in Loop: Header=BB1_31 Depth=3
	s_or_b64 exec, exec, s[94:95]
                                        ; implicit-def: $sgpr12_sgpr13
	s_and_saveexec_b64 s[76:77], s[86:87]
	s_cbranch_execz .LBB1_29
; %bb.60:                               ;   in Loop: Header=BB1_31 Depth=3
	s_xor_b64 s[2:3], s[82:83], -1
	s_and_saveexec_b64 s[12:13], s[2:3]
	s_xor_b64 s[24:25], exec, s[12:13]
	s_cbranch_execz .LBB1_28
; %bb.61:                               ;   in Loop: Header=BB1_31 Depth=3
	v_mov_b32_e32 v33, s45
	v_add_co_u32_e32 v32, vcc, s44, v38
	v_addc_co_u32_e32 v33, vcc, v39, v33, vcc
	v_cmp_le_i64_e32 vcc, v[34:35], v[32:33]
                                        ; implicit-def: $sgpr26_sgpr27
	s_and_saveexec_b64 s[2:3], vcc
	s_xor_b64 s[2:3], exec, s[2:3]
; %bb.62:                               ;   in Loop: Header=BB1_31 Depth=3
	v_cmp_gt_i64_e32 vcc, v[34:35], v[38:39]
	v_cndmask_b32_e32 v39, v39, v33, vcc
	v_cndmask_b32_e32 v38, v38, v32, vcc
	s_and_b64 s[26:27], s[82:83], exec
; %bb.63:                               ;   in Loop: Header=BB1_31 Depth=3
	s_andn2_saveexec_b64 s[86:87], s[2:3]
	s_cbranch_execz .LBB1_27
; %bb.64:                               ;   in Loop: Header=BB1_31 Depth=3
	v_cmp_gt_i64_e32 vcc, s[4:5], v[36:37]
	s_and_saveexec_b64 s[12:13], vcc
	s_cbranch_execz .LBB1_26
; %bb.65:                               ;   in Loop: Header=BB1_31 Depth=3
	v_mov_b32_e32 v32, s5
	v_cmp_gt_i64_e32 vcc, s[4:5], v[38:39]
	v_cndmask_b32_e32 v33, v32, v39, vcc
	v_mov_b32_e32 v32, s4
	v_cndmask_b32_e32 v32, v32, v38, vcc
	v_ashrrev_i32_e32 v37, 31, v36
	v_cmp_lt_i64_e32 vcc, v[36:37], v[32:33]
	s_and_saveexec_b64 s[94:95], vcc
	s_cbranch_execz .LBB1_25
; %bb.66:                               ;   in Loop: Header=BB1_31 Depth=3
	v_lshlrev_b64 v[38:39], 2, v[28:29]
	v_add_co_u32_e32 v38, vcc, v68, v38
	v_addc_co_u32_e32 v39, vcc, v69, v39, vcc
	s_mov_b64 s[16:17], 0
.LBB1_67:                               ;   Parent Loop BB1_20 Depth=1
                                        ;     Parent Loop BB1_23 Depth=2
                                        ;       Parent Loop BB1_31 Depth=3
                                        ; =>      This Inner Loop Header: Depth=4
	global_store_dword v[38:39], v36, off
	v_add_co_u32_e32 v36, vcc, s46, v36
	v_add_co_u32_e32 v28, vcc, 1, v28
	v_addc_co_u32_e32 v29, vcc, 0, v29, vcc
	v_ashrrev_i32_e32 v37, 31, v36
	v_add_co_u32_e32 v38, vcc, 4, v38
	v_cmp_ge_i64_e64 s[2:3], v[36:37], v[32:33]
	s_or_b64 s[16:17], s[2:3], s[16:17]
	v_addc_co_u32_e32 v39, vcc, 0, v39, vcc
	s_andn2_b64 exec, exec, s[16:17]
	s_cbranch_execnz .LBB1_67
	s_branch .LBB1_24
.LBB1_68:                               ;   in Loop: Header=BB1_23 Depth=2
	s_or_b64 exec, exec, s[60:61]
	s_andn2_b64 s[12:13], s[50:51], exec
	s_and_b64 s[16:17], s[64:65], exec
	s_or_b64 s[50:51], s[12:13], s[16:17]
	s_andn2_b64 s[12:13], s[52:53], exec
	s_and_b64 s[16:17], s[62:63], exec
	s_mov_b64 s[2:3], -1
	s_or_b64 s[52:53], s[12:13], s[16:17]
	v_pk_mov_b32 v[18:19], v[16:17], v[16:17] op_sel:[0,1]
                                        ; implicit-def: $sgpr76_sgpr77
	s_and_saveexec_b64 s[12:13], s[58:59]
	s_xor_b64 s[12:13], exec, s[12:13]
	s_cbranch_execz .LBB1_22
; %bb.69:                               ;   in Loop: Header=BB1_23 Depth=2
	v_cmp_lt_i64_e32 vcc, v[16:17], v[56:57]
	s_and_saveexec_b64 s[2:3], vcc
	s_cbranch_execz .LBB1_21
; %bb.70:                               ;   in Loop: Header=BB1_23 Depth=2
	v_lshlrev_b64 v[18:19], 2, v[4:5]
	v_add_co_u32_e32 v18, vcc, v64, v18
	v_addc_co_u32_e32 v19, vcc, v65, v19, vcc
	v_add_co_u32_e32 v4, vcc, 1, v4
	v_addc_co_u32_e32 v5, vcc, 0, v5, vcc
	global_store_dword v[18:19], v16, off
	s_branch .LBB1_21
.LBB1_71:                               ;   in Loop: Header=BB1_20 Depth=1
	s_or_b64 exec, exec, s[48:49]
	s_mov_b64 s[0:1], -1
                                        ; implicit-def: $sgpr76_sgpr77
                                        ; implicit-def: $vgpr16
	s_and_saveexec_b64 s[2:3], s[40:41]
	s_xor_b64 s[2:3], exec, s[2:3]
	s_cbranch_execz .LBB1_19
; %bb.72:                               ;   in Loop: Header=BB1_20 Depth=1
	s_add_u32 s12, s30, 1
	s_addc_u32 s13, s31, 0
	s_lshl_b64 s[0:1], s[30:31], 2
	v_readlane_b32 s16, v71, 0
	v_readlane_b32 s17, v71, 1
	s_add_u32 s0, s16, s0
	s_addc_u32 s1, s17, s1
	global_load_dword v16, v70, s[0:1]
	s_and_b64 s[76:77], s[38:39], exec
	s_xor_b64 s[0:1], exec, -1
	s_mov_b64 s[30:31], s[12:13]
	s_branch .LBB1_19
.LBB1_73:
	s_or_b64 exec, exec, s[22:23]
	s_and_saveexec_b64 s[0:1], s[28:29]
	v_readlane_b32 s48, v71, 2
	v_readlane_b32 s60, v71, 14
	;; [unrolled: 1-line block ×5, first 2 shown]
	s_mov_b64 s[12:13], s[60:61]
	s_xor_b64 s[0:1], exec, s[0:1]
	s_mov_b64 s[14:15], s[62:63]
	v_readlane_b32 s49, v71, 3
	v_readlane_b32 s50, v71, 4
	;; [unrolled: 1-line block ×11, first 2 shown]
	s_cbranch_execz .LBB1_77
; %bb.74:
	v_cmp_gt_i64_e32 vcc, s[4:5], v[18:19]
	s_and_b64 s[6:7], s[18:19], vcc
	s_and_saveexec_b64 s[2:3], s[6:7]
	s_cbranch_execz .LBB1_76
; %bb.75:
	v_add_co_u32_e32 v0, vcc, 1, v4
	v_lshlrev_b64 v[4:5], 2, v[4:5]
	v_add_co_u32_e32 v4, vcc, v64, v4
	v_addc_co_u32_e32 v5, vcc, v65, v5, vcc
	global_store_dword v[4:5], v18, off
	v_pk_mov_b32 v[4:5], v[0:1], v[0:1] op_sel:[0,1]
.LBB1_76:
	s_or_b64 exec, exec, s[2:3]
.LBB1_77:
	s_or_b64 exec, exec, s[0:1]
	v_cmp_gt_i64_e32 vcc, s[4:5], v[48:49]
	s_and_saveexec_b64 s[2:3], vcc
	s_cbranch_execz .LBB1_83
; %bb.78:
	v_mov_b32_e32 v0, s5
	v_cmp_gt_i64_e32 vcc, s[4:5], v[50:51]
	v_cndmask_b32_e32 v1, v0, v51, vcc
	v_mov_b32_e32 v0, s4
	v_cndmask_b32_e32 v0, v0, v50, vcc
	v_ashrrev_i32_e32 v49, 31, v48
	v_cmp_lt_i64_e32 vcc, v[48:49], v[0:1]
	s_and_saveexec_b64 s[4:5], vcc
	s_cbranch_execz .LBB1_82
; %bb.79:
	v_lshlrev_b64 v[8:9], 2, v[46:47]
	v_add_co_u32_e32 v5, vcc, v6, v8
	v_addc_co_u32_e32 v7, vcc, v7, v9, vcc
	v_mov_b32_e32 v8, s15
	v_add_co_u32_e32 v6, vcc, s14, v5
	v_addc_co_u32_e32 v7, vcc, v8, v7, vcc
	s_mov_b64 s[6:7], 0
.LBB1_80:                               ; =>This Inner Loop Header: Depth=1
	v_add_co_u32_e32 v46, vcc, 1, v46
	v_addc_co_u32_e32 v47, vcc, 0, v47, vcc
	global_store_dword v[6:7], v48, off
	v_add_co_u32_e32 v48, vcc, s46, v48
	v_ashrrev_i32_e32 v49, 31, v48
	v_add_co_u32_e32 v6, vcc, 4, v6
	v_cmp_ge_i64_e64 s[0:1], v[48:49], v[0:1]
	s_or_b64 s[6:7], s[0:1], s[6:7]
	v_addc_co_u32_e32 v7, vcc, 0, v7, vcc
	s_andn2_b64 exec, exec, s[6:7]
	s_cbranch_execnz .LBB1_80
; %bb.81:
	s_or_b64 exec, exec, s[6:7]
.LBB1_82:
	s_or_b64 exec, exec, s[4:5]
.LBB1_83:
	s_or_b64 exec, exec, s[2:3]
	v_lshlrev_b64 v[0:1], 2, v[2:3]
	v_mov_b32_e32 v3, s13
	v_add_co_u32_e32 v2, vcc, s12, v0
	v_addc_co_u32_e32 v3, vcc, v3, v1, vcc
	v_mov_b32_e32 v5, s37
	v_add_co_u32_e32 v0, vcc, s36, v0
	v_addc_co_u32_e32 v1, vcc, v5, v1, vcc
	global_store_dword v[2:3], v46, off
	global_store_dword v[0:1], v4, off
.LBB1_84:
	s_endpgm
	.section	.rodata,"a",@progbits
	.p2align	6, 0x0
	.amdhsa_kernel _Z47convert_vertical_slash_indexes_kernel_mergeheadPKiS0_S0_S0_S0_S0_PiS1_S1_S1_llllllb
		.amdhsa_group_segment_fixed_size 0
		.amdhsa_private_segment_fixed_size 0
		.amdhsa_kernarg_size 392
		.amdhsa_user_sgpr_count 6
		.amdhsa_user_sgpr_private_segment_buffer 1
		.amdhsa_user_sgpr_dispatch_ptr 0
		.amdhsa_user_sgpr_queue_ptr 0
		.amdhsa_user_sgpr_kernarg_segment_ptr 1
		.amdhsa_user_sgpr_dispatch_id 0
		.amdhsa_user_sgpr_flat_scratch_init 0
		.amdhsa_user_sgpr_kernarg_preload_length 0
		.amdhsa_user_sgpr_kernarg_preload_offset 0
		.amdhsa_user_sgpr_private_segment_size 0
		.amdhsa_uses_dynamic_stack 0
		.amdhsa_system_sgpr_private_segment_wavefront_offset 0
		.amdhsa_system_sgpr_workgroup_id_x 1
		.amdhsa_system_sgpr_workgroup_id_y 1
		.amdhsa_system_sgpr_workgroup_id_z 1
		.amdhsa_system_sgpr_workgroup_info 0
		.amdhsa_system_vgpr_workitem_id 0
		.amdhsa_next_free_vgpr 72
		.amdhsa_next_free_sgpr 96
		.amdhsa_accum_offset 72
		.amdhsa_reserve_vcc 1
		.amdhsa_reserve_flat_scratch 0
		.amdhsa_float_round_mode_32 0
		.amdhsa_float_round_mode_16_64 0
		.amdhsa_float_denorm_mode_32 3
		.amdhsa_float_denorm_mode_16_64 3
		.amdhsa_dx10_clamp 1
		.amdhsa_ieee_mode 1
		.amdhsa_fp16_overflow 0
		.amdhsa_tg_split 0
		.amdhsa_exception_fp_ieee_invalid_op 0
		.amdhsa_exception_fp_denorm_src 0
		.amdhsa_exception_fp_ieee_div_zero 0
		.amdhsa_exception_fp_ieee_overflow 0
		.amdhsa_exception_fp_ieee_underflow 0
		.amdhsa_exception_fp_ieee_inexact 0
		.amdhsa_exception_int_div_zero 0
	.end_amdhsa_kernel
	.text
.Lfunc_end1:
	.size	_Z47convert_vertical_slash_indexes_kernel_mergeheadPKiS0_S0_S0_S0_S0_PiS1_S1_S1_llllllb, .Lfunc_end1-_Z47convert_vertical_slash_indexes_kernel_mergeheadPKiS0_S0_S0_S0_S0_PiS1_S1_S1_llllllb
                                        ; -- End function
	.section	.AMDGPU.csdata,"",@progbits
; Kernel info:
; codeLenInByte = 3580
; NumSgprs: 100
; NumVgprs: 72
; NumAgprs: 0
; TotalNumVgprs: 72
; ScratchSize: 0
; MemoryBound: 0
; FloatMode: 240
; IeeeMode: 1
; LDSByteSize: 0 bytes/workgroup (compile time only)
; SGPRBlocks: 12
; VGPRBlocks: 8
; NumSGPRsForWavesPerEU: 100
; NumVGPRsForWavesPerEU: 72
; AccumOffset: 72
; Occupancy: 7
; WaveLimiterHint : 0
; COMPUTE_PGM_RSRC2:SCRATCH_EN: 0
; COMPUTE_PGM_RSRC2:USER_SGPR: 6
; COMPUTE_PGM_RSRC2:TRAP_HANDLER: 0
; COMPUTE_PGM_RSRC2:TGID_X_EN: 1
; COMPUTE_PGM_RSRC2:TGID_Y_EN: 1
; COMPUTE_PGM_RSRC2:TGID_Z_EN: 1
; COMPUTE_PGM_RSRC2:TIDIG_COMP_CNT: 0
; COMPUTE_PGM_RSRC3_GFX90A:ACCUM_OFFSET: 17
; COMPUTE_PGM_RSRC3_GFX90A:TG_SPLIT: 0
	.text
	.p2alignl 6, 3212836864
	.fill 256, 4, 3212836864
	.type	__hip_cuid_e21621416d53048f,@object ; @__hip_cuid_e21621416d53048f
	.section	.bss,"aw",@nobits
	.globl	__hip_cuid_e21621416d53048f
__hip_cuid_e21621416d53048f:
	.byte	0                               ; 0x0
	.size	__hip_cuid_e21621416d53048f, 1

	.ident	"AMD clang version 19.0.0git (https://github.com/RadeonOpenCompute/llvm-project roc-6.4.0 25133 c7fe45cf4b819c5991fe208aaa96edf142730f1d)"
	.section	".note.GNU-stack","",@progbits
	.addrsig
	.addrsig_sym __hip_cuid_e21621416d53048f
	.amdgpu_metadata
---
amdhsa.kernels:
  - .agpr_count:     0
    .args:
      - .address_space:  global
        .offset:         0
        .size:           8
        .value_kind:     global_buffer
      - .address_space:  global
        .offset:         8
        .size:           8
        .value_kind:     global_buffer
      - .address_space:  global
        .offset:         16
        .size:           8
        .value_kind:     global_buffer
      - .address_space:  global
        .offset:         24
        .size:           8
        .value_kind:     global_buffer
      - .address_space:  global
        .offset:         32
        .size:           8
        .value_kind:     global_buffer
      - .address_space:  global
        .offset:         40
        .size:           8
        .value_kind:     global_buffer
      - .address_space:  global
        .offset:         48
        .size:           8
        .value_kind:     global_buffer
      - .address_space:  global
        .offset:         56
        .size:           8
        .value_kind:     global_buffer
      - .offset:         64
        .size:           8
        .value_kind:     by_value
      - .offset:         72
        .size:           8
        .value_kind:     by_value
      - .offset:         80
        .size:           8
        .value_kind:     by_value
      - .offset:         88
        .size:           8
        .value_kind:     by_value
      - .offset:         96
        .size:           8
        .value_kind:     by_value
      - .offset:         104
        .size:           8
        .value_kind:     by_value
      - .offset:         112
        .size:           1
        .value_kind:     by_value
      - .offset:         120
        .size:           4
        .value_kind:     hidden_block_count_x
      - .offset:         124
        .size:           4
        .value_kind:     hidden_block_count_y
      - .offset:         128
        .size:           4
        .value_kind:     hidden_block_count_z
      - .offset:         132
        .size:           2
        .value_kind:     hidden_group_size_x
      - .offset:         134
        .size:           2
        .value_kind:     hidden_group_size_y
      - .offset:         136
        .size:           2
        .value_kind:     hidden_group_size_z
      - .offset:         138
        .size:           2
        .value_kind:     hidden_remainder_x
      - .offset:         140
        .size:           2
        .value_kind:     hidden_remainder_y
      - .offset:         142
        .size:           2
        .value_kind:     hidden_remainder_z
      - .offset:         160
        .size:           8
        .value_kind:     hidden_global_offset_x
      - .offset:         168
        .size:           8
        .value_kind:     hidden_global_offset_y
      - .offset:         176
        .size:           8
        .value_kind:     hidden_global_offset_z
      - .offset:         184
        .size:           2
        .value_kind:     hidden_grid_dims
    .group_segment_fixed_size: 0
    .kernarg_segment_align: 8
    .kernarg_segment_size: 376
    .language:       OpenCL C
    .language_version:
      - 2
      - 0
    .max_flat_workgroup_size: 1024
    .name:           _Z37convert_vertical_slash_indexes_kernelPKiS0_S0_S0_PiS1_S1_S1_llllllb
    .private_segment_fixed_size: 0
    .sgpr_count:     100
    .sgpr_spill_count: 18
    .symbol:         _Z37convert_vertical_slash_indexes_kernelPKiS0_S0_S0_PiS1_S1_S1_llllllb.kd
    .uniform_work_group_size: 1
    .uses_dynamic_stack: false
    .vgpr_count:     72
    .vgpr_spill_count: 0
    .wavefront_size: 64
  - .agpr_count:     0
    .args:
      - .address_space:  global
        .offset:         0
        .size:           8
        .value_kind:     global_buffer
      - .address_space:  global
        .offset:         8
        .size:           8
        .value_kind:     global_buffer
      - .address_space:  global
        .offset:         16
        .size:           8
        .value_kind:     global_buffer
      - .address_space:  global
        .offset:         24
        .size:           8
        .value_kind:     global_buffer
      - .address_space:  global
        .offset:         32
        .size:           8
        .value_kind:     global_buffer
      - .address_space:  global
        .offset:         40
        .size:           8
        .value_kind:     global_buffer
      - .address_space:  global
        .offset:         48
        .size:           8
        .value_kind:     global_buffer
      - .address_space:  global
        .offset:         56
        .size:           8
        .value_kind:     global_buffer
      - .address_space:  global
        .offset:         64
        .size:           8
        .value_kind:     global_buffer
      - .address_space:  global
        .offset:         72
        .size:           8
        .value_kind:     global_buffer
      - .offset:         80
        .size:           8
        .value_kind:     by_value
      - .offset:         88
        .size:           8
        .value_kind:     by_value
      - .offset:         96
        .size:           8
        .value_kind:     by_value
      - .offset:         104
        .size:           8
        .value_kind:     by_value
      - .offset:         112
        .size:           8
        .value_kind:     by_value
      - .offset:         120
        .size:           8
        .value_kind:     by_value
      - .offset:         128
        .size:           1
        .value_kind:     by_value
      - .offset:         136
        .size:           4
        .value_kind:     hidden_block_count_x
      - .offset:         140
        .size:           4
        .value_kind:     hidden_block_count_y
      - .offset:         144
        .size:           4
        .value_kind:     hidden_block_count_z
      - .offset:         148
        .size:           2
        .value_kind:     hidden_group_size_x
      - .offset:         150
        .size:           2
        .value_kind:     hidden_group_size_y
      - .offset:         152
        .size:           2
        .value_kind:     hidden_group_size_z
      - .offset:         154
        .size:           2
        .value_kind:     hidden_remainder_x
      - .offset:         156
        .size:           2
        .value_kind:     hidden_remainder_y
      - .offset:         158
        .size:           2
        .value_kind:     hidden_remainder_z
      - .offset:         176
        .size:           8
        .value_kind:     hidden_global_offset_x
      - .offset:         184
        .size:           8
        .value_kind:     hidden_global_offset_y
      - .offset:         192
        .size:           8
        .value_kind:     hidden_global_offset_z
      - .offset:         200
        .size:           2
        .value_kind:     hidden_grid_dims
    .group_segment_fixed_size: 0
    .kernarg_segment_align: 8
    .kernarg_segment_size: 392
    .language:       OpenCL C
    .language_version:
      - 2
      - 0
    .max_flat_workgroup_size: 1024
    .name:           _Z47convert_vertical_slash_indexes_kernel_mergeheadPKiS0_S0_S0_S0_S0_PiS1_S1_S1_llllllb
    .private_segment_fixed_size: 0
    .sgpr_count:     100
    .sgpr_spill_count: 20
    .symbol:         _Z47convert_vertical_slash_indexes_kernel_mergeheadPKiS0_S0_S0_S0_S0_PiS1_S1_S1_llllllb.kd
    .uniform_work_group_size: 1
    .uses_dynamic_stack: false
    .vgpr_count:     72
    .vgpr_spill_count: 0
    .wavefront_size: 64
amdhsa.target:   amdgcn-amd-amdhsa--gfx90a
amdhsa.version:
  - 1
  - 2
...

	.end_amdgpu_metadata
